;; amdgpu-corpus repo=ROCm/hipCUB kind=compiled arch=gfx1100 opt=O3
	.text
	.amdgcn_target "amdgcn-amd-amdhsa--gfx1100"
	.amdhsa_code_object_version 6
	.section	.text._Z16warp_load_kernelILj1024ELj4ELj64ELN6hipcub17WarpLoadAlgorithmE3EiEvPT3_S3_,"axG",@progbits,_Z16warp_load_kernelILj1024ELj4ELj64ELN6hipcub17WarpLoadAlgorithmE3EiEvPT3_S3_,comdat
	.protected	_Z16warp_load_kernelILj1024ELj4ELj64ELN6hipcub17WarpLoadAlgorithmE3EiEvPT3_S3_ ; -- Begin function _Z16warp_load_kernelILj1024ELj4ELj64ELN6hipcub17WarpLoadAlgorithmE3EiEvPT3_S3_
	.globl	_Z16warp_load_kernelILj1024ELj4ELj64ELN6hipcub17WarpLoadAlgorithmE3EiEvPT3_S3_
	.p2align	8
	.type	_Z16warp_load_kernelILj1024ELj4ELj64ELN6hipcub17WarpLoadAlgorithmE3EiEvPT3_S3_,@function
_Z16warp_load_kernelILj1024ELj4ELj64ELN6hipcub17WarpLoadAlgorithmE3EiEvPT3_S3_: ; @_Z16warp_load_kernelILj1024ELj4ELj64ELN6hipcub17WarpLoadAlgorithmE3EiEvPT3_S3_
; %bb.0:
	s_endpgm
	.section	.rodata,"a",@progbits
	.p2align	6, 0x0
	.amdhsa_kernel _Z16warp_load_kernelILj1024ELj4ELj64ELN6hipcub17WarpLoadAlgorithmE3EiEvPT3_S3_
		.amdhsa_group_segment_fixed_size 0
		.amdhsa_private_segment_fixed_size 0
		.amdhsa_kernarg_size 16
		.amdhsa_user_sgpr_count 15
		.amdhsa_user_sgpr_dispatch_ptr 0
		.amdhsa_user_sgpr_queue_ptr 0
		.amdhsa_user_sgpr_kernarg_segment_ptr 1
		.amdhsa_user_sgpr_dispatch_id 0
		.amdhsa_user_sgpr_private_segment_size 0
		.amdhsa_wavefront_size32 1
		.amdhsa_uses_dynamic_stack 0
		.amdhsa_enable_private_segment 0
		.amdhsa_system_sgpr_workgroup_id_x 1
		.amdhsa_system_sgpr_workgroup_id_y 0
		.amdhsa_system_sgpr_workgroup_id_z 0
		.amdhsa_system_sgpr_workgroup_info 0
		.amdhsa_system_vgpr_workitem_id 0
		.amdhsa_next_free_vgpr 1
		.amdhsa_next_free_sgpr 1
		.amdhsa_reserve_vcc 0
		.amdhsa_float_round_mode_32 0
		.amdhsa_float_round_mode_16_64 0
		.amdhsa_float_denorm_mode_32 3
		.amdhsa_float_denorm_mode_16_64 3
		.amdhsa_dx10_clamp 1
		.amdhsa_ieee_mode 1
		.amdhsa_fp16_overflow 0
		.amdhsa_workgroup_processor_mode 1
		.amdhsa_memory_ordered 1
		.amdhsa_forward_progress 0
		.amdhsa_shared_vgpr_count 0
		.amdhsa_exception_fp_ieee_invalid_op 0
		.amdhsa_exception_fp_denorm_src 0
		.amdhsa_exception_fp_ieee_div_zero 0
		.amdhsa_exception_fp_ieee_overflow 0
		.amdhsa_exception_fp_ieee_underflow 0
		.amdhsa_exception_fp_ieee_inexact 0
		.amdhsa_exception_int_div_zero 0
	.end_amdhsa_kernel
	.section	.text._Z16warp_load_kernelILj1024ELj4ELj64ELN6hipcub17WarpLoadAlgorithmE3EiEvPT3_S3_,"axG",@progbits,_Z16warp_load_kernelILj1024ELj4ELj64ELN6hipcub17WarpLoadAlgorithmE3EiEvPT3_S3_,comdat
.Lfunc_end0:
	.size	_Z16warp_load_kernelILj1024ELj4ELj64ELN6hipcub17WarpLoadAlgorithmE3EiEvPT3_S3_, .Lfunc_end0-_Z16warp_load_kernelILj1024ELj4ELj64ELN6hipcub17WarpLoadAlgorithmE3EiEvPT3_S3_
                                        ; -- End function
	.section	.AMDGPU.csdata,"",@progbits
; Kernel info:
; codeLenInByte = 4
; NumSgprs: 0
; NumVgprs: 0
; ScratchSize: 0
; MemoryBound: 0
; FloatMode: 240
; IeeeMode: 1
; LDSByteSize: 0 bytes/workgroup (compile time only)
; SGPRBlocks: 0
; VGPRBlocks: 0
; NumSGPRsForWavesPerEU: 1
; NumVGPRsForWavesPerEU: 1
; Occupancy: 16
; WaveLimiterHint : 0
; COMPUTE_PGM_RSRC2:SCRATCH_EN: 0
; COMPUTE_PGM_RSRC2:USER_SGPR: 15
; COMPUTE_PGM_RSRC2:TRAP_HANDLER: 0
; COMPUTE_PGM_RSRC2:TGID_X_EN: 1
; COMPUTE_PGM_RSRC2:TGID_Y_EN: 0
; COMPUTE_PGM_RSRC2:TGID_Z_EN: 0
; COMPUTE_PGM_RSRC2:TIDIG_COMP_CNT: 0
	.section	.text._Z16warp_load_kernelILj1024ELj4ELj64ELN6hipcub17WarpLoadAlgorithmE2EiEvPT3_S3_,"axG",@progbits,_Z16warp_load_kernelILj1024ELj4ELj64ELN6hipcub17WarpLoadAlgorithmE2EiEvPT3_S3_,comdat
	.protected	_Z16warp_load_kernelILj1024ELj4ELj64ELN6hipcub17WarpLoadAlgorithmE2EiEvPT3_S3_ ; -- Begin function _Z16warp_load_kernelILj1024ELj4ELj64ELN6hipcub17WarpLoadAlgorithmE2EiEvPT3_S3_
	.globl	_Z16warp_load_kernelILj1024ELj4ELj64ELN6hipcub17WarpLoadAlgorithmE2EiEvPT3_S3_
	.p2align	8
	.type	_Z16warp_load_kernelILj1024ELj4ELj64ELN6hipcub17WarpLoadAlgorithmE2EiEvPT3_S3_,@function
_Z16warp_load_kernelILj1024ELj4ELj64ELN6hipcub17WarpLoadAlgorithmE2EiEvPT3_S3_: ; @_Z16warp_load_kernelILj1024ELj4ELj64ELN6hipcub17WarpLoadAlgorithmE2EiEvPT3_S3_
; %bb.0:
	s_endpgm
	.section	.rodata,"a",@progbits
	.p2align	6, 0x0
	.amdhsa_kernel _Z16warp_load_kernelILj1024ELj4ELj64ELN6hipcub17WarpLoadAlgorithmE2EiEvPT3_S3_
		.amdhsa_group_segment_fixed_size 0
		.amdhsa_private_segment_fixed_size 0
		.amdhsa_kernarg_size 16
		.amdhsa_user_sgpr_count 15
		.amdhsa_user_sgpr_dispatch_ptr 0
		.amdhsa_user_sgpr_queue_ptr 0
		.amdhsa_user_sgpr_kernarg_segment_ptr 1
		.amdhsa_user_sgpr_dispatch_id 0
		.amdhsa_user_sgpr_private_segment_size 0
		.amdhsa_wavefront_size32 1
		.amdhsa_uses_dynamic_stack 0
		.amdhsa_enable_private_segment 0
		.amdhsa_system_sgpr_workgroup_id_x 1
		.amdhsa_system_sgpr_workgroup_id_y 0
		.amdhsa_system_sgpr_workgroup_id_z 0
		.amdhsa_system_sgpr_workgroup_info 0
		.amdhsa_system_vgpr_workitem_id 0
		.amdhsa_next_free_vgpr 1
		.amdhsa_next_free_sgpr 1
		.amdhsa_reserve_vcc 0
		.amdhsa_float_round_mode_32 0
		.amdhsa_float_round_mode_16_64 0
		.amdhsa_float_denorm_mode_32 3
		.amdhsa_float_denorm_mode_16_64 3
		.amdhsa_dx10_clamp 1
		.amdhsa_ieee_mode 1
		.amdhsa_fp16_overflow 0
		.amdhsa_workgroup_processor_mode 1
		.amdhsa_memory_ordered 1
		.amdhsa_forward_progress 0
		.amdhsa_shared_vgpr_count 0
		.amdhsa_exception_fp_ieee_invalid_op 0
		.amdhsa_exception_fp_denorm_src 0
		.amdhsa_exception_fp_ieee_div_zero 0
		.amdhsa_exception_fp_ieee_overflow 0
		.amdhsa_exception_fp_ieee_underflow 0
		.amdhsa_exception_fp_ieee_inexact 0
		.amdhsa_exception_int_div_zero 0
	.end_amdhsa_kernel
	.section	.text._Z16warp_load_kernelILj1024ELj4ELj64ELN6hipcub17WarpLoadAlgorithmE2EiEvPT3_S3_,"axG",@progbits,_Z16warp_load_kernelILj1024ELj4ELj64ELN6hipcub17WarpLoadAlgorithmE2EiEvPT3_S3_,comdat
.Lfunc_end1:
	.size	_Z16warp_load_kernelILj1024ELj4ELj64ELN6hipcub17WarpLoadAlgorithmE2EiEvPT3_S3_, .Lfunc_end1-_Z16warp_load_kernelILj1024ELj4ELj64ELN6hipcub17WarpLoadAlgorithmE2EiEvPT3_S3_
                                        ; -- End function
	.section	.AMDGPU.csdata,"",@progbits
; Kernel info:
; codeLenInByte = 4
; NumSgprs: 0
; NumVgprs: 0
; ScratchSize: 0
; MemoryBound: 0
; FloatMode: 240
; IeeeMode: 1
; LDSByteSize: 0 bytes/workgroup (compile time only)
; SGPRBlocks: 0
; VGPRBlocks: 0
; NumSGPRsForWavesPerEU: 1
; NumVGPRsForWavesPerEU: 1
; Occupancy: 16
; WaveLimiterHint : 0
; COMPUTE_PGM_RSRC2:SCRATCH_EN: 0
; COMPUTE_PGM_RSRC2:USER_SGPR: 15
; COMPUTE_PGM_RSRC2:TRAP_HANDLER: 0
; COMPUTE_PGM_RSRC2:TGID_X_EN: 1
; COMPUTE_PGM_RSRC2:TGID_Y_EN: 0
; COMPUTE_PGM_RSRC2:TGID_Z_EN: 0
; COMPUTE_PGM_RSRC2:TIDIG_COMP_CNT: 0
	.section	.text._Z16warp_load_kernelILj1024ELj4ELj64ELN6hipcub17WarpLoadAlgorithmE1EiEvPT3_S3_,"axG",@progbits,_Z16warp_load_kernelILj1024ELj4ELj64ELN6hipcub17WarpLoadAlgorithmE1EiEvPT3_S3_,comdat
	.protected	_Z16warp_load_kernelILj1024ELj4ELj64ELN6hipcub17WarpLoadAlgorithmE1EiEvPT3_S3_ ; -- Begin function _Z16warp_load_kernelILj1024ELj4ELj64ELN6hipcub17WarpLoadAlgorithmE1EiEvPT3_S3_
	.globl	_Z16warp_load_kernelILj1024ELj4ELj64ELN6hipcub17WarpLoadAlgorithmE1EiEvPT3_S3_
	.p2align	8
	.type	_Z16warp_load_kernelILj1024ELj4ELj64ELN6hipcub17WarpLoadAlgorithmE1EiEvPT3_S3_,@function
_Z16warp_load_kernelILj1024ELj4ELj64ELN6hipcub17WarpLoadAlgorithmE1EiEvPT3_S3_: ; @_Z16warp_load_kernelILj1024ELj4ELj64ELN6hipcub17WarpLoadAlgorithmE1EiEvPT3_S3_
; %bb.0:
	s_endpgm
	.section	.rodata,"a",@progbits
	.p2align	6, 0x0
	.amdhsa_kernel _Z16warp_load_kernelILj1024ELj4ELj64ELN6hipcub17WarpLoadAlgorithmE1EiEvPT3_S3_
		.amdhsa_group_segment_fixed_size 0
		.amdhsa_private_segment_fixed_size 0
		.amdhsa_kernarg_size 16
		.amdhsa_user_sgpr_count 15
		.amdhsa_user_sgpr_dispatch_ptr 0
		.amdhsa_user_sgpr_queue_ptr 0
		.amdhsa_user_sgpr_kernarg_segment_ptr 1
		.amdhsa_user_sgpr_dispatch_id 0
		.amdhsa_user_sgpr_private_segment_size 0
		.amdhsa_wavefront_size32 1
		.amdhsa_uses_dynamic_stack 0
		.amdhsa_enable_private_segment 0
		.amdhsa_system_sgpr_workgroup_id_x 1
		.amdhsa_system_sgpr_workgroup_id_y 0
		.amdhsa_system_sgpr_workgroup_id_z 0
		.amdhsa_system_sgpr_workgroup_info 0
		.amdhsa_system_vgpr_workitem_id 0
		.amdhsa_next_free_vgpr 1
		.amdhsa_next_free_sgpr 1
		.amdhsa_reserve_vcc 0
		.amdhsa_float_round_mode_32 0
		.amdhsa_float_round_mode_16_64 0
		.amdhsa_float_denorm_mode_32 3
		.amdhsa_float_denorm_mode_16_64 3
		.amdhsa_dx10_clamp 1
		.amdhsa_ieee_mode 1
		.amdhsa_fp16_overflow 0
		.amdhsa_workgroup_processor_mode 1
		.amdhsa_memory_ordered 1
		.amdhsa_forward_progress 0
		.amdhsa_shared_vgpr_count 0
		.amdhsa_exception_fp_ieee_invalid_op 0
		.amdhsa_exception_fp_denorm_src 0
		.amdhsa_exception_fp_ieee_div_zero 0
		.amdhsa_exception_fp_ieee_overflow 0
		.amdhsa_exception_fp_ieee_underflow 0
		.amdhsa_exception_fp_ieee_inexact 0
		.amdhsa_exception_int_div_zero 0
	.end_amdhsa_kernel
	.section	.text._Z16warp_load_kernelILj1024ELj4ELj64ELN6hipcub17WarpLoadAlgorithmE1EiEvPT3_S3_,"axG",@progbits,_Z16warp_load_kernelILj1024ELj4ELj64ELN6hipcub17WarpLoadAlgorithmE1EiEvPT3_S3_,comdat
.Lfunc_end2:
	.size	_Z16warp_load_kernelILj1024ELj4ELj64ELN6hipcub17WarpLoadAlgorithmE1EiEvPT3_S3_, .Lfunc_end2-_Z16warp_load_kernelILj1024ELj4ELj64ELN6hipcub17WarpLoadAlgorithmE1EiEvPT3_S3_
                                        ; -- End function
	.section	.AMDGPU.csdata,"",@progbits
; Kernel info:
; codeLenInByte = 4
; NumSgprs: 0
; NumVgprs: 0
; ScratchSize: 0
; MemoryBound: 0
; FloatMode: 240
; IeeeMode: 1
; LDSByteSize: 0 bytes/workgroup (compile time only)
; SGPRBlocks: 0
; VGPRBlocks: 0
; NumSGPRsForWavesPerEU: 1
; NumVGPRsForWavesPerEU: 1
; Occupancy: 16
; WaveLimiterHint : 0
; COMPUTE_PGM_RSRC2:SCRATCH_EN: 0
; COMPUTE_PGM_RSRC2:USER_SGPR: 15
; COMPUTE_PGM_RSRC2:TRAP_HANDLER: 0
; COMPUTE_PGM_RSRC2:TGID_X_EN: 1
; COMPUTE_PGM_RSRC2:TGID_Y_EN: 0
; COMPUTE_PGM_RSRC2:TGID_Z_EN: 0
; COMPUTE_PGM_RSRC2:TIDIG_COMP_CNT: 0
	.section	.text._Z16warp_load_kernelILj1024ELj4ELj64ELN6hipcub17WarpLoadAlgorithmE0EiEvPT3_S3_,"axG",@progbits,_Z16warp_load_kernelILj1024ELj4ELj64ELN6hipcub17WarpLoadAlgorithmE0EiEvPT3_S3_,comdat
	.protected	_Z16warp_load_kernelILj1024ELj4ELj64ELN6hipcub17WarpLoadAlgorithmE0EiEvPT3_S3_ ; -- Begin function _Z16warp_load_kernelILj1024ELj4ELj64ELN6hipcub17WarpLoadAlgorithmE0EiEvPT3_S3_
	.globl	_Z16warp_load_kernelILj1024ELj4ELj64ELN6hipcub17WarpLoadAlgorithmE0EiEvPT3_S3_
	.p2align	8
	.type	_Z16warp_load_kernelILj1024ELj4ELj64ELN6hipcub17WarpLoadAlgorithmE0EiEvPT3_S3_,@function
_Z16warp_load_kernelILj1024ELj4ELj64ELN6hipcub17WarpLoadAlgorithmE0EiEvPT3_S3_: ; @_Z16warp_load_kernelILj1024ELj4ELj64ELN6hipcub17WarpLoadAlgorithmE0EiEvPT3_S3_
; %bb.0:
	s_endpgm
	.section	.rodata,"a",@progbits
	.p2align	6, 0x0
	.amdhsa_kernel _Z16warp_load_kernelILj1024ELj4ELj64ELN6hipcub17WarpLoadAlgorithmE0EiEvPT3_S3_
		.amdhsa_group_segment_fixed_size 0
		.amdhsa_private_segment_fixed_size 0
		.amdhsa_kernarg_size 16
		.amdhsa_user_sgpr_count 15
		.amdhsa_user_sgpr_dispatch_ptr 0
		.amdhsa_user_sgpr_queue_ptr 0
		.amdhsa_user_sgpr_kernarg_segment_ptr 1
		.amdhsa_user_sgpr_dispatch_id 0
		.amdhsa_user_sgpr_private_segment_size 0
		.amdhsa_wavefront_size32 1
		.amdhsa_uses_dynamic_stack 0
		.amdhsa_enable_private_segment 0
		.amdhsa_system_sgpr_workgroup_id_x 1
		.amdhsa_system_sgpr_workgroup_id_y 0
		.amdhsa_system_sgpr_workgroup_id_z 0
		.amdhsa_system_sgpr_workgroup_info 0
		.amdhsa_system_vgpr_workitem_id 0
		.amdhsa_next_free_vgpr 1
		.amdhsa_next_free_sgpr 1
		.amdhsa_reserve_vcc 0
		.amdhsa_float_round_mode_32 0
		.amdhsa_float_round_mode_16_64 0
		.amdhsa_float_denorm_mode_32 3
		.amdhsa_float_denorm_mode_16_64 3
		.amdhsa_dx10_clamp 1
		.amdhsa_ieee_mode 1
		.amdhsa_fp16_overflow 0
		.amdhsa_workgroup_processor_mode 1
		.amdhsa_memory_ordered 1
		.amdhsa_forward_progress 0
		.amdhsa_shared_vgpr_count 0
		.amdhsa_exception_fp_ieee_invalid_op 0
		.amdhsa_exception_fp_denorm_src 0
		.amdhsa_exception_fp_ieee_div_zero 0
		.amdhsa_exception_fp_ieee_overflow 0
		.amdhsa_exception_fp_ieee_underflow 0
		.amdhsa_exception_fp_ieee_inexact 0
		.amdhsa_exception_int_div_zero 0
	.end_amdhsa_kernel
	.section	.text._Z16warp_load_kernelILj1024ELj4ELj64ELN6hipcub17WarpLoadAlgorithmE0EiEvPT3_S3_,"axG",@progbits,_Z16warp_load_kernelILj1024ELj4ELj64ELN6hipcub17WarpLoadAlgorithmE0EiEvPT3_S3_,comdat
.Lfunc_end3:
	.size	_Z16warp_load_kernelILj1024ELj4ELj64ELN6hipcub17WarpLoadAlgorithmE0EiEvPT3_S3_, .Lfunc_end3-_Z16warp_load_kernelILj1024ELj4ELj64ELN6hipcub17WarpLoadAlgorithmE0EiEvPT3_S3_
                                        ; -- End function
	.section	.AMDGPU.csdata,"",@progbits
; Kernel info:
; codeLenInByte = 4
; NumSgprs: 0
; NumVgprs: 0
; ScratchSize: 0
; MemoryBound: 0
; FloatMode: 240
; IeeeMode: 1
; LDSByteSize: 0 bytes/workgroup (compile time only)
; SGPRBlocks: 0
; VGPRBlocks: 0
; NumSGPRsForWavesPerEU: 1
; NumVGPRsForWavesPerEU: 1
; Occupancy: 16
; WaveLimiterHint : 0
; COMPUTE_PGM_RSRC2:SCRATCH_EN: 0
; COMPUTE_PGM_RSRC2:USER_SGPR: 15
; COMPUTE_PGM_RSRC2:TRAP_HANDLER: 0
; COMPUTE_PGM_RSRC2:TGID_X_EN: 1
; COMPUTE_PGM_RSRC2:TGID_Y_EN: 0
; COMPUTE_PGM_RSRC2:TGID_Z_EN: 0
; COMPUTE_PGM_RSRC2:TIDIG_COMP_CNT: 0
	.section	.text._Z16warp_load_kernelILj1024ELj4ELj32ELN6hipcub17WarpLoadAlgorithmE3EiEvPT3_S3_,"axG",@progbits,_Z16warp_load_kernelILj1024ELj4ELj32ELN6hipcub17WarpLoadAlgorithmE3EiEvPT3_S3_,comdat
	.protected	_Z16warp_load_kernelILj1024ELj4ELj32ELN6hipcub17WarpLoadAlgorithmE3EiEvPT3_S3_ ; -- Begin function _Z16warp_load_kernelILj1024ELj4ELj32ELN6hipcub17WarpLoadAlgorithmE3EiEvPT3_S3_
	.globl	_Z16warp_load_kernelILj1024ELj4ELj32ELN6hipcub17WarpLoadAlgorithmE3EiEvPT3_S3_
	.p2align	8
	.type	_Z16warp_load_kernelILj1024ELj4ELj32ELN6hipcub17WarpLoadAlgorithmE3EiEvPT3_S3_,@function
_Z16warp_load_kernelILj1024ELj4ELj32ELN6hipcub17WarpLoadAlgorithmE3EiEvPT3_S3_: ; @_Z16warp_load_kernelILj1024ELj4ELj32ELN6hipcub17WarpLoadAlgorithmE3EiEvPT3_S3_
; %bb.0:
	s_load_b128 s[0:3], s[0:1], 0x0
	v_lshlrev_b32_e32 v4, 4, v0
	v_mbcnt_lo_u32_b32 v2, -1, 0
	s_delay_alu instid0(VALU_DEP_2) | instskip(NEXT) | instid1(VALU_DEP_2)
	v_and_b32_e32 v3, 0x3e00, v4
	v_lshlrev_b32_e32 v5, 2, v2
	s_delay_alu instid0(VALU_DEP_2) | instskip(SKIP_2) | instid1(VALU_DEP_1)
	v_lshl_or_b32 v2, v2, 4, v3
	s_waitcnt lgkmcnt(0)
	v_add_co_u32 v0, s0, s0, v3
	v_add_co_ci_u32_e64 v1, null, s1, 0, s0
	s_delay_alu instid0(VALU_DEP_2) | instskip(NEXT) | instid1(VALU_DEP_2)
	v_add_co_u32 v0, vcc_lo, v0, v5
	v_add_co_ci_u32_e32 v1, vcc_lo, 0, v1, vcc_lo
	s_clause 0x3
	global_load_b32 v6, v[0:1], off
	global_load_b32 v7, v[0:1], off offset:128
	global_load_b32 v8, v[0:1], off offset:256
	;; [unrolled: 1-line block ×3, first 2 shown]
	v_or_b32_e32 v1, v3, v5
	s_waitcnt vmcnt(2)
	ds_store_2addr_b32 v1, v6, v7 offset1:32
	s_waitcnt vmcnt(0)
	ds_store_2addr_b32 v1, v8, v0 offset0:64 offset1:96
	; wave barrier
	ds_load_b128 v[0:3], v2
	s_waitcnt lgkmcnt(0)
	global_store_b128 v4, v[0:3], s[2:3]
	s_nop 0
	s_sendmsg sendmsg(MSG_DEALLOC_VGPRS)
	s_endpgm
	.section	.rodata,"a",@progbits
	.p2align	6, 0x0
	.amdhsa_kernel _Z16warp_load_kernelILj1024ELj4ELj32ELN6hipcub17WarpLoadAlgorithmE3EiEvPT3_S3_
		.amdhsa_group_segment_fixed_size 16384
		.amdhsa_private_segment_fixed_size 0
		.amdhsa_kernarg_size 16
		.amdhsa_user_sgpr_count 15
		.amdhsa_user_sgpr_dispatch_ptr 0
		.amdhsa_user_sgpr_queue_ptr 0
		.amdhsa_user_sgpr_kernarg_segment_ptr 1
		.amdhsa_user_sgpr_dispatch_id 0
		.amdhsa_user_sgpr_private_segment_size 0
		.amdhsa_wavefront_size32 1
		.amdhsa_uses_dynamic_stack 0
		.amdhsa_enable_private_segment 0
		.amdhsa_system_sgpr_workgroup_id_x 1
		.amdhsa_system_sgpr_workgroup_id_y 0
		.amdhsa_system_sgpr_workgroup_id_z 0
		.amdhsa_system_sgpr_workgroup_info 0
		.amdhsa_system_vgpr_workitem_id 0
		.amdhsa_next_free_vgpr 9
		.amdhsa_next_free_sgpr 4
		.amdhsa_reserve_vcc 1
		.amdhsa_float_round_mode_32 0
		.amdhsa_float_round_mode_16_64 0
		.amdhsa_float_denorm_mode_32 3
		.amdhsa_float_denorm_mode_16_64 3
		.amdhsa_dx10_clamp 1
		.amdhsa_ieee_mode 1
		.amdhsa_fp16_overflow 0
		.amdhsa_workgroup_processor_mode 1
		.amdhsa_memory_ordered 1
		.amdhsa_forward_progress 0
		.amdhsa_shared_vgpr_count 0
		.amdhsa_exception_fp_ieee_invalid_op 0
		.amdhsa_exception_fp_denorm_src 0
		.amdhsa_exception_fp_ieee_div_zero 0
		.amdhsa_exception_fp_ieee_overflow 0
		.amdhsa_exception_fp_ieee_underflow 0
		.amdhsa_exception_fp_ieee_inexact 0
		.amdhsa_exception_int_div_zero 0
	.end_amdhsa_kernel
	.section	.text._Z16warp_load_kernelILj1024ELj4ELj32ELN6hipcub17WarpLoadAlgorithmE3EiEvPT3_S3_,"axG",@progbits,_Z16warp_load_kernelILj1024ELj4ELj32ELN6hipcub17WarpLoadAlgorithmE3EiEvPT3_S3_,comdat
.Lfunc_end4:
	.size	_Z16warp_load_kernelILj1024ELj4ELj32ELN6hipcub17WarpLoadAlgorithmE3EiEvPT3_S3_, .Lfunc_end4-_Z16warp_load_kernelILj1024ELj4ELj32ELN6hipcub17WarpLoadAlgorithmE3EiEvPT3_S3_
                                        ; -- End function
	.section	.AMDGPU.csdata,"",@progbits
; Kernel info:
; codeLenInByte = 180
; NumSgprs: 6
; NumVgprs: 9
; ScratchSize: 0
; MemoryBound: 0
; FloatMode: 240
; IeeeMode: 1
; LDSByteSize: 16384 bytes/workgroup (compile time only)
; SGPRBlocks: 0
; VGPRBlocks: 1
; NumSGPRsForWavesPerEU: 6
; NumVGPRsForWavesPerEU: 9
; Occupancy: 16
; WaveLimiterHint : 1
; COMPUTE_PGM_RSRC2:SCRATCH_EN: 0
; COMPUTE_PGM_RSRC2:USER_SGPR: 15
; COMPUTE_PGM_RSRC2:TRAP_HANDLER: 0
; COMPUTE_PGM_RSRC2:TGID_X_EN: 1
; COMPUTE_PGM_RSRC2:TGID_Y_EN: 0
; COMPUTE_PGM_RSRC2:TGID_Z_EN: 0
; COMPUTE_PGM_RSRC2:TIDIG_COMP_CNT: 0
	.section	.text._Z16warp_load_kernelILj1024ELj4ELj32ELN6hipcub17WarpLoadAlgorithmE2EiEvPT3_S3_,"axG",@progbits,_Z16warp_load_kernelILj1024ELj4ELj32ELN6hipcub17WarpLoadAlgorithmE2EiEvPT3_S3_,comdat
	.protected	_Z16warp_load_kernelILj1024ELj4ELj32ELN6hipcub17WarpLoadAlgorithmE2EiEvPT3_S3_ ; -- Begin function _Z16warp_load_kernelILj1024ELj4ELj32ELN6hipcub17WarpLoadAlgorithmE2EiEvPT3_S3_
	.globl	_Z16warp_load_kernelILj1024ELj4ELj32ELN6hipcub17WarpLoadAlgorithmE2EiEvPT3_S3_
	.p2align	8
	.type	_Z16warp_load_kernelILj1024ELj4ELj32ELN6hipcub17WarpLoadAlgorithmE2EiEvPT3_S3_,@function
_Z16warp_load_kernelILj1024ELj4ELj32ELN6hipcub17WarpLoadAlgorithmE2EiEvPT3_S3_: ; @_Z16warp_load_kernelILj1024ELj4ELj32ELN6hipcub17WarpLoadAlgorithmE2EiEvPT3_S3_
; %bb.0:
	s_load_b128 s[0:3], s[0:1], 0x0
	v_lshlrev_b32_e32 v4, 4, v0
	v_mbcnt_lo_u32_b32 v0, -1, 0
	s_delay_alu instid0(VALU_DEP_2) | instskip(NEXT) | instid1(VALU_DEP_2)
	v_and_b32_e32 v1, 0x3e00, v4
	v_lshlrev_b32_e32 v0, 4, v0
	s_waitcnt lgkmcnt(0)
	s_delay_alu instid0(VALU_DEP_2) | instskip(NEXT) | instid1(VALU_DEP_1)
	v_add_co_u32 v1, s0, s0, v1
	v_add_co_ci_u32_e64 v2, null, s1, 0, s0
	s_delay_alu instid0(VALU_DEP_2) | instskip(NEXT) | instid1(VALU_DEP_2)
	v_add_co_u32 v0, vcc_lo, v1, v0
	v_add_co_ci_u32_e32 v1, vcc_lo, 0, v2, vcc_lo
	global_load_b128 v[0:3], v[0:1], off
	s_waitcnt vmcnt(0)
	global_store_b128 v4, v[0:3], s[2:3]
	s_nop 0
	s_sendmsg sendmsg(MSG_DEALLOC_VGPRS)
	s_endpgm
	.section	.rodata,"a",@progbits
	.p2align	6, 0x0
	.amdhsa_kernel _Z16warp_load_kernelILj1024ELj4ELj32ELN6hipcub17WarpLoadAlgorithmE2EiEvPT3_S3_
		.amdhsa_group_segment_fixed_size 0
		.amdhsa_private_segment_fixed_size 0
		.amdhsa_kernarg_size 16
		.amdhsa_user_sgpr_count 15
		.amdhsa_user_sgpr_dispatch_ptr 0
		.amdhsa_user_sgpr_queue_ptr 0
		.amdhsa_user_sgpr_kernarg_segment_ptr 1
		.amdhsa_user_sgpr_dispatch_id 0
		.amdhsa_user_sgpr_private_segment_size 0
		.amdhsa_wavefront_size32 1
		.amdhsa_uses_dynamic_stack 0
		.amdhsa_enable_private_segment 0
		.amdhsa_system_sgpr_workgroup_id_x 1
		.amdhsa_system_sgpr_workgroup_id_y 0
		.amdhsa_system_sgpr_workgroup_id_z 0
		.amdhsa_system_sgpr_workgroup_info 0
		.amdhsa_system_vgpr_workitem_id 0
		.amdhsa_next_free_vgpr 5
		.amdhsa_next_free_sgpr 4
		.amdhsa_reserve_vcc 1
		.amdhsa_float_round_mode_32 0
		.amdhsa_float_round_mode_16_64 0
		.amdhsa_float_denorm_mode_32 3
		.amdhsa_float_denorm_mode_16_64 3
		.amdhsa_dx10_clamp 1
		.amdhsa_ieee_mode 1
		.amdhsa_fp16_overflow 0
		.amdhsa_workgroup_processor_mode 1
		.amdhsa_memory_ordered 1
		.amdhsa_forward_progress 0
		.amdhsa_shared_vgpr_count 0
		.amdhsa_exception_fp_ieee_invalid_op 0
		.amdhsa_exception_fp_denorm_src 0
		.amdhsa_exception_fp_ieee_div_zero 0
		.amdhsa_exception_fp_ieee_overflow 0
		.amdhsa_exception_fp_ieee_underflow 0
		.amdhsa_exception_fp_ieee_inexact 0
		.amdhsa_exception_int_div_zero 0
	.end_amdhsa_kernel
	.section	.text._Z16warp_load_kernelILj1024ELj4ELj32ELN6hipcub17WarpLoadAlgorithmE2EiEvPT3_S3_,"axG",@progbits,_Z16warp_load_kernelILj1024ELj4ELj32ELN6hipcub17WarpLoadAlgorithmE2EiEvPT3_S3_,comdat
.Lfunc_end5:
	.size	_Z16warp_load_kernelILj1024ELj4ELj32ELN6hipcub17WarpLoadAlgorithmE2EiEvPT3_S3_, .Lfunc_end5-_Z16warp_load_kernelILj1024ELj4ELj32ELN6hipcub17WarpLoadAlgorithmE2EiEvPT3_S3_
                                        ; -- End function
	.section	.AMDGPU.csdata,"",@progbits
; Kernel info:
; codeLenInByte = 108
; NumSgprs: 6
; NumVgprs: 5
; ScratchSize: 0
; MemoryBound: 0
; FloatMode: 240
; IeeeMode: 1
; LDSByteSize: 0 bytes/workgroup (compile time only)
; SGPRBlocks: 0
; VGPRBlocks: 0
; NumSGPRsForWavesPerEU: 6
; NumVGPRsForWavesPerEU: 5
; Occupancy: 16
; WaveLimiterHint : 0
; COMPUTE_PGM_RSRC2:SCRATCH_EN: 0
; COMPUTE_PGM_RSRC2:USER_SGPR: 15
; COMPUTE_PGM_RSRC2:TRAP_HANDLER: 0
; COMPUTE_PGM_RSRC2:TGID_X_EN: 1
; COMPUTE_PGM_RSRC2:TGID_Y_EN: 0
; COMPUTE_PGM_RSRC2:TGID_Z_EN: 0
; COMPUTE_PGM_RSRC2:TIDIG_COMP_CNT: 0
	.section	.text._Z16warp_load_kernelILj1024ELj4ELj32ELN6hipcub17WarpLoadAlgorithmE1EiEvPT3_S3_,"axG",@progbits,_Z16warp_load_kernelILj1024ELj4ELj32ELN6hipcub17WarpLoadAlgorithmE1EiEvPT3_S3_,comdat
	.protected	_Z16warp_load_kernelILj1024ELj4ELj32ELN6hipcub17WarpLoadAlgorithmE1EiEvPT3_S3_ ; -- Begin function _Z16warp_load_kernelILj1024ELj4ELj32ELN6hipcub17WarpLoadAlgorithmE1EiEvPT3_S3_
	.globl	_Z16warp_load_kernelILj1024ELj4ELj32ELN6hipcub17WarpLoadAlgorithmE1EiEvPT3_S3_
	.p2align	8
	.type	_Z16warp_load_kernelILj1024ELj4ELj32ELN6hipcub17WarpLoadAlgorithmE1EiEvPT3_S3_,@function
_Z16warp_load_kernelILj1024ELj4ELj32ELN6hipcub17WarpLoadAlgorithmE1EiEvPT3_S3_: ; @_Z16warp_load_kernelILj1024ELj4ELj32ELN6hipcub17WarpLoadAlgorithmE1EiEvPT3_S3_
; %bb.0:
	s_load_b128 s[0:3], s[0:1], 0x0
	v_lshlrev_b32_e32 v5, 4, v0
	v_mbcnt_lo_u32_b32 v0, -1, 0
	s_delay_alu instid0(VALU_DEP_2) | instskip(NEXT) | instid1(VALU_DEP_2)
	v_and_b32_e32 v1, 0x3e00, v5
	v_lshlrev_b32_e32 v0, 2, v0
	s_waitcnt lgkmcnt(0)
	s_delay_alu instid0(VALU_DEP_2) | instskip(NEXT) | instid1(VALU_DEP_1)
	v_add_co_u32 v1, s0, s0, v1
	v_add_co_ci_u32_e64 v2, null, s1, 0, s0
	s_delay_alu instid0(VALU_DEP_2) | instskip(NEXT) | instid1(VALU_DEP_2)
	v_add_co_u32 v3, vcc_lo, v1, v0
	v_add_co_ci_u32_e32 v4, vcc_lo, 0, v2, vcc_lo
	s_clause 0x3
	global_load_b32 v0, v[3:4], off
	global_load_b32 v1, v[3:4], off offset:128
	global_load_b32 v2, v[3:4], off offset:256
	global_load_b32 v3, v[3:4], off offset:384
	s_waitcnt vmcnt(0)
	global_store_b128 v5, v[0:3], s[2:3]
	s_nop 0
	s_sendmsg sendmsg(MSG_DEALLOC_VGPRS)
	s_endpgm
	.section	.rodata,"a",@progbits
	.p2align	6, 0x0
	.amdhsa_kernel _Z16warp_load_kernelILj1024ELj4ELj32ELN6hipcub17WarpLoadAlgorithmE1EiEvPT3_S3_
		.amdhsa_group_segment_fixed_size 0
		.amdhsa_private_segment_fixed_size 0
		.amdhsa_kernarg_size 16
		.amdhsa_user_sgpr_count 15
		.amdhsa_user_sgpr_dispatch_ptr 0
		.amdhsa_user_sgpr_queue_ptr 0
		.amdhsa_user_sgpr_kernarg_segment_ptr 1
		.amdhsa_user_sgpr_dispatch_id 0
		.amdhsa_user_sgpr_private_segment_size 0
		.amdhsa_wavefront_size32 1
		.amdhsa_uses_dynamic_stack 0
		.amdhsa_enable_private_segment 0
		.amdhsa_system_sgpr_workgroup_id_x 1
		.amdhsa_system_sgpr_workgroup_id_y 0
		.amdhsa_system_sgpr_workgroup_id_z 0
		.amdhsa_system_sgpr_workgroup_info 0
		.amdhsa_system_vgpr_workitem_id 0
		.amdhsa_next_free_vgpr 6
		.amdhsa_next_free_sgpr 4
		.amdhsa_reserve_vcc 1
		.amdhsa_float_round_mode_32 0
		.amdhsa_float_round_mode_16_64 0
		.amdhsa_float_denorm_mode_32 3
		.amdhsa_float_denorm_mode_16_64 3
		.amdhsa_dx10_clamp 1
		.amdhsa_ieee_mode 1
		.amdhsa_fp16_overflow 0
		.amdhsa_workgroup_processor_mode 1
		.amdhsa_memory_ordered 1
		.amdhsa_forward_progress 0
		.amdhsa_shared_vgpr_count 0
		.amdhsa_exception_fp_ieee_invalid_op 0
		.amdhsa_exception_fp_denorm_src 0
		.amdhsa_exception_fp_ieee_div_zero 0
		.amdhsa_exception_fp_ieee_overflow 0
		.amdhsa_exception_fp_ieee_underflow 0
		.amdhsa_exception_fp_ieee_inexact 0
		.amdhsa_exception_int_div_zero 0
	.end_amdhsa_kernel
	.section	.text._Z16warp_load_kernelILj1024ELj4ELj32ELN6hipcub17WarpLoadAlgorithmE1EiEvPT3_S3_,"axG",@progbits,_Z16warp_load_kernelILj1024ELj4ELj32ELN6hipcub17WarpLoadAlgorithmE1EiEvPT3_S3_,comdat
.Lfunc_end6:
	.size	_Z16warp_load_kernelILj1024ELj4ELj32ELN6hipcub17WarpLoadAlgorithmE1EiEvPT3_S3_, .Lfunc_end6-_Z16warp_load_kernelILj1024ELj4ELj32ELN6hipcub17WarpLoadAlgorithmE1EiEvPT3_S3_
                                        ; -- End function
	.section	.AMDGPU.csdata,"",@progbits
; Kernel info:
; codeLenInByte = 136
; NumSgprs: 6
; NumVgprs: 6
; ScratchSize: 0
; MemoryBound: 0
; FloatMode: 240
; IeeeMode: 1
; LDSByteSize: 0 bytes/workgroup (compile time only)
; SGPRBlocks: 0
; VGPRBlocks: 0
; NumSGPRsForWavesPerEU: 6
; NumVGPRsForWavesPerEU: 6
; Occupancy: 16
; WaveLimiterHint : 1
; COMPUTE_PGM_RSRC2:SCRATCH_EN: 0
; COMPUTE_PGM_RSRC2:USER_SGPR: 15
; COMPUTE_PGM_RSRC2:TRAP_HANDLER: 0
; COMPUTE_PGM_RSRC2:TGID_X_EN: 1
; COMPUTE_PGM_RSRC2:TGID_Y_EN: 0
; COMPUTE_PGM_RSRC2:TGID_Z_EN: 0
; COMPUTE_PGM_RSRC2:TIDIG_COMP_CNT: 0
	.section	.text._Z16warp_load_kernelILj1024ELj4ELj32ELN6hipcub17WarpLoadAlgorithmE0EiEvPT3_S3_,"axG",@progbits,_Z16warp_load_kernelILj1024ELj4ELj32ELN6hipcub17WarpLoadAlgorithmE0EiEvPT3_S3_,comdat
	.protected	_Z16warp_load_kernelILj1024ELj4ELj32ELN6hipcub17WarpLoadAlgorithmE0EiEvPT3_S3_ ; -- Begin function _Z16warp_load_kernelILj1024ELj4ELj32ELN6hipcub17WarpLoadAlgorithmE0EiEvPT3_S3_
	.globl	_Z16warp_load_kernelILj1024ELj4ELj32ELN6hipcub17WarpLoadAlgorithmE0EiEvPT3_S3_
	.p2align	8
	.type	_Z16warp_load_kernelILj1024ELj4ELj32ELN6hipcub17WarpLoadAlgorithmE0EiEvPT3_S3_,@function
_Z16warp_load_kernelILj1024ELj4ELj32ELN6hipcub17WarpLoadAlgorithmE0EiEvPT3_S3_: ; @_Z16warp_load_kernelILj1024ELj4ELj32ELN6hipcub17WarpLoadAlgorithmE0EiEvPT3_S3_
; %bb.0:
	s_load_b128 s[0:3], s[0:1], 0x0
	v_lshlrev_b32_e32 v4, 4, v0
	v_mbcnt_lo_u32_b32 v0, -1, 0
	s_delay_alu instid0(VALU_DEP_2) | instskip(NEXT) | instid1(VALU_DEP_2)
	v_and_b32_e32 v1, 0x3e00, v4
	v_lshlrev_b32_e32 v0, 4, v0
	s_waitcnt lgkmcnt(0)
	s_delay_alu instid0(VALU_DEP_2) | instskip(NEXT) | instid1(VALU_DEP_1)
	v_add_co_u32 v1, s0, s0, v1
	v_add_co_ci_u32_e64 v2, null, s1, 0, s0
	s_delay_alu instid0(VALU_DEP_2) | instskip(NEXT) | instid1(VALU_DEP_2)
	v_add_co_u32 v0, vcc_lo, v1, v0
	v_add_co_ci_u32_e32 v1, vcc_lo, 0, v2, vcc_lo
	global_load_b128 v[0:3], v[0:1], off
	s_waitcnt vmcnt(0)
	global_store_b128 v4, v[0:3], s[2:3]
	s_nop 0
	s_sendmsg sendmsg(MSG_DEALLOC_VGPRS)
	s_endpgm
	.section	.rodata,"a",@progbits
	.p2align	6, 0x0
	.amdhsa_kernel _Z16warp_load_kernelILj1024ELj4ELj32ELN6hipcub17WarpLoadAlgorithmE0EiEvPT3_S3_
		.amdhsa_group_segment_fixed_size 0
		.amdhsa_private_segment_fixed_size 0
		.amdhsa_kernarg_size 16
		.amdhsa_user_sgpr_count 15
		.amdhsa_user_sgpr_dispatch_ptr 0
		.amdhsa_user_sgpr_queue_ptr 0
		.amdhsa_user_sgpr_kernarg_segment_ptr 1
		.amdhsa_user_sgpr_dispatch_id 0
		.amdhsa_user_sgpr_private_segment_size 0
		.amdhsa_wavefront_size32 1
		.amdhsa_uses_dynamic_stack 0
		.amdhsa_enable_private_segment 0
		.amdhsa_system_sgpr_workgroup_id_x 1
		.amdhsa_system_sgpr_workgroup_id_y 0
		.amdhsa_system_sgpr_workgroup_id_z 0
		.amdhsa_system_sgpr_workgroup_info 0
		.amdhsa_system_vgpr_workitem_id 0
		.amdhsa_next_free_vgpr 5
		.amdhsa_next_free_sgpr 4
		.amdhsa_reserve_vcc 1
		.amdhsa_float_round_mode_32 0
		.amdhsa_float_round_mode_16_64 0
		.amdhsa_float_denorm_mode_32 3
		.amdhsa_float_denorm_mode_16_64 3
		.amdhsa_dx10_clamp 1
		.amdhsa_ieee_mode 1
		.amdhsa_fp16_overflow 0
		.amdhsa_workgroup_processor_mode 1
		.amdhsa_memory_ordered 1
		.amdhsa_forward_progress 0
		.amdhsa_shared_vgpr_count 0
		.amdhsa_exception_fp_ieee_invalid_op 0
		.amdhsa_exception_fp_denorm_src 0
		.amdhsa_exception_fp_ieee_div_zero 0
		.amdhsa_exception_fp_ieee_overflow 0
		.amdhsa_exception_fp_ieee_underflow 0
		.amdhsa_exception_fp_ieee_inexact 0
		.amdhsa_exception_int_div_zero 0
	.end_amdhsa_kernel
	.section	.text._Z16warp_load_kernelILj1024ELj4ELj32ELN6hipcub17WarpLoadAlgorithmE0EiEvPT3_S3_,"axG",@progbits,_Z16warp_load_kernelILj1024ELj4ELj32ELN6hipcub17WarpLoadAlgorithmE0EiEvPT3_S3_,comdat
.Lfunc_end7:
	.size	_Z16warp_load_kernelILj1024ELj4ELj32ELN6hipcub17WarpLoadAlgorithmE0EiEvPT3_S3_, .Lfunc_end7-_Z16warp_load_kernelILj1024ELj4ELj32ELN6hipcub17WarpLoadAlgorithmE0EiEvPT3_S3_
                                        ; -- End function
	.section	.AMDGPU.csdata,"",@progbits
; Kernel info:
; codeLenInByte = 108
; NumSgprs: 6
; NumVgprs: 5
; ScratchSize: 0
; MemoryBound: 0
; FloatMode: 240
; IeeeMode: 1
; LDSByteSize: 0 bytes/workgroup (compile time only)
; SGPRBlocks: 0
; VGPRBlocks: 0
; NumSGPRsForWavesPerEU: 6
; NumVGPRsForWavesPerEU: 5
; Occupancy: 16
; WaveLimiterHint : 0
; COMPUTE_PGM_RSRC2:SCRATCH_EN: 0
; COMPUTE_PGM_RSRC2:USER_SGPR: 15
; COMPUTE_PGM_RSRC2:TRAP_HANDLER: 0
; COMPUTE_PGM_RSRC2:TGID_X_EN: 1
; COMPUTE_PGM_RSRC2:TGID_Y_EN: 0
; COMPUTE_PGM_RSRC2:TGID_Z_EN: 0
; COMPUTE_PGM_RSRC2:TIDIG_COMP_CNT: 0
	.section	.text._Z16warp_load_kernelILj1024ELj4ELj16ELN6hipcub17WarpLoadAlgorithmE3EiEvPT3_S3_,"axG",@progbits,_Z16warp_load_kernelILj1024ELj4ELj16ELN6hipcub17WarpLoadAlgorithmE3EiEvPT3_S3_,comdat
	.protected	_Z16warp_load_kernelILj1024ELj4ELj16ELN6hipcub17WarpLoadAlgorithmE3EiEvPT3_S3_ ; -- Begin function _Z16warp_load_kernelILj1024ELj4ELj16ELN6hipcub17WarpLoadAlgorithmE3EiEvPT3_S3_
	.globl	_Z16warp_load_kernelILj1024ELj4ELj16ELN6hipcub17WarpLoadAlgorithmE3EiEvPT3_S3_
	.p2align	8
	.type	_Z16warp_load_kernelILj1024ELj4ELj16ELN6hipcub17WarpLoadAlgorithmE3EiEvPT3_S3_,@function
_Z16warp_load_kernelILj1024ELj4ELj16ELN6hipcub17WarpLoadAlgorithmE3EiEvPT3_S3_: ; @_Z16warp_load_kernelILj1024ELj4ELj16ELN6hipcub17WarpLoadAlgorithmE3EiEvPT3_S3_
; %bb.0:
	s_load_b128 s[0:3], s[0:1], 0x0
	v_mbcnt_lo_u32_b32 v1, -1, 0
	v_lshlrev_b32_e32 v4, 4, v0
	s_delay_alu instid0(VALU_DEP_2) | instskip(NEXT) | instid1(VALU_DEP_2)
	v_and_b32_e32 v2, 15, v1
	v_and_b32_e32 v3, 0x3f00, v4
	s_delay_alu instid0(VALU_DEP_2) | instskip(SKIP_1) | instid1(VALU_DEP_2)
	v_lshlrev_b32_e32 v5, 2, v2
	s_waitcnt lgkmcnt(0)
	v_add_co_u32 v0, s0, s0, v3
	s_delay_alu instid0(VALU_DEP_1) | instskip(NEXT) | instid1(VALU_DEP_2)
	v_add_co_ci_u32_e64 v1, null, s1, 0, s0
	v_add_co_u32 v0, vcc_lo, v0, v5
	s_delay_alu instid0(VALU_DEP_2)
	v_add_co_ci_u32_e32 v1, vcc_lo, 0, v1, vcc_lo
	s_clause 0x3
	global_load_b32 v6, v[0:1], off
	global_load_b32 v7, v[0:1], off offset:64
	global_load_b32 v8, v[0:1], off offset:128
	;; [unrolled: 1-line block ×3, first 2 shown]
	v_or_b32_e32 v1, v3, v5
	s_waitcnt vmcnt(2)
	ds_store_2addr_b32 v1, v6, v7 offset1:16
	s_waitcnt vmcnt(0)
	ds_store_2addr_b32 v1, v8, v0 offset0:32 offset1:48
	v_mad_u32_u24 v2, v2, 12, v1
	; wave barrier
	ds_load_b128 v[0:3], v2
	s_waitcnt lgkmcnt(0)
	global_store_b128 v4, v[0:3], s[2:3]
	s_nop 0
	s_sendmsg sendmsg(MSG_DEALLOC_VGPRS)
	s_endpgm
	.section	.rodata,"a",@progbits
	.p2align	6, 0x0
	.amdhsa_kernel _Z16warp_load_kernelILj1024ELj4ELj16ELN6hipcub17WarpLoadAlgorithmE3EiEvPT3_S3_
		.amdhsa_group_segment_fixed_size 16384
		.amdhsa_private_segment_fixed_size 0
		.amdhsa_kernarg_size 16
		.amdhsa_user_sgpr_count 15
		.amdhsa_user_sgpr_dispatch_ptr 0
		.amdhsa_user_sgpr_queue_ptr 0
		.amdhsa_user_sgpr_kernarg_segment_ptr 1
		.amdhsa_user_sgpr_dispatch_id 0
		.amdhsa_user_sgpr_private_segment_size 0
		.amdhsa_wavefront_size32 1
		.amdhsa_uses_dynamic_stack 0
		.amdhsa_enable_private_segment 0
		.amdhsa_system_sgpr_workgroup_id_x 1
		.amdhsa_system_sgpr_workgroup_id_y 0
		.amdhsa_system_sgpr_workgroup_id_z 0
		.amdhsa_system_sgpr_workgroup_info 0
		.amdhsa_system_vgpr_workitem_id 0
		.amdhsa_next_free_vgpr 9
		.amdhsa_next_free_sgpr 4
		.amdhsa_reserve_vcc 1
		.amdhsa_float_round_mode_32 0
		.amdhsa_float_round_mode_16_64 0
		.amdhsa_float_denorm_mode_32 3
		.amdhsa_float_denorm_mode_16_64 3
		.amdhsa_dx10_clamp 1
		.amdhsa_ieee_mode 1
		.amdhsa_fp16_overflow 0
		.amdhsa_workgroup_processor_mode 1
		.amdhsa_memory_ordered 1
		.amdhsa_forward_progress 0
		.amdhsa_shared_vgpr_count 0
		.amdhsa_exception_fp_ieee_invalid_op 0
		.amdhsa_exception_fp_denorm_src 0
		.amdhsa_exception_fp_ieee_div_zero 0
		.amdhsa_exception_fp_ieee_overflow 0
		.amdhsa_exception_fp_ieee_underflow 0
		.amdhsa_exception_fp_ieee_inexact 0
		.amdhsa_exception_int_div_zero 0
	.end_amdhsa_kernel
	.section	.text._Z16warp_load_kernelILj1024ELj4ELj16ELN6hipcub17WarpLoadAlgorithmE3EiEvPT3_S3_,"axG",@progbits,_Z16warp_load_kernelILj1024ELj4ELj16ELN6hipcub17WarpLoadAlgorithmE3EiEvPT3_S3_,comdat
.Lfunc_end8:
	.size	_Z16warp_load_kernelILj1024ELj4ELj16ELN6hipcub17WarpLoadAlgorithmE3EiEvPT3_S3_, .Lfunc_end8-_Z16warp_load_kernelILj1024ELj4ELj16ELN6hipcub17WarpLoadAlgorithmE3EiEvPT3_S3_
                                        ; -- End function
	.section	.AMDGPU.csdata,"",@progbits
; Kernel info:
; codeLenInByte = 188
; NumSgprs: 6
; NumVgprs: 9
; ScratchSize: 0
; MemoryBound: 0
; FloatMode: 240
; IeeeMode: 1
; LDSByteSize: 16384 bytes/workgroup (compile time only)
; SGPRBlocks: 0
; VGPRBlocks: 1
; NumSGPRsForWavesPerEU: 6
; NumVGPRsForWavesPerEU: 9
; Occupancy: 16
; WaveLimiterHint : 0
; COMPUTE_PGM_RSRC2:SCRATCH_EN: 0
; COMPUTE_PGM_RSRC2:USER_SGPR: 15
; COMPUTE_PGM_RSRC2:TRAP_HANDLER: 0
; COMPUTE_PGM_RSRC2:TGID_X_EN: 1
; COMPUTE_PGM_RSRC2:TGID_Y_EN: 0
; COMPUTE_PGM_RSRC2:TGID_Z_EN: 0
; COMPUTE_PGM_RSRC2:TIDIG_COMP_CNT: 0
	.section	.text._Z16warp_load_kernelILj1024ELj4ELj16ELN6hipcub17WarpLoadAlgorithmE2EiEvPT3_S3_,"axG",@progbits,_Z16warp_load_kernelILj1024ELj4ELj16ELN6hipcub17WarpLoadAlgorithmE2EiEvPT3_S3_,comdat
	.protected	_Z16warp_load_kernelILj1024ELj4ELj16ELN6hipcub17WarpLoadAlgorithmE2EiEvPT3_S3_ ; -- Begin function _Z16warp_load_kernelILj1024ELj4ELj16ELN6hipcub17WarpLoadAlgorithmE2EiEvPT3_S3_
	.globl	_Z16warp_load_kernelILj1024ELj4ELj16ELN6hipcub17WarpLoadAlgorithmE2EiEvPT3_S3_
	.p2align	8
	.type	_Z16warp_load_kernelILj1024ELj4ELj16ELN6hipcub17WarpLoadAlgorithmE2EiEvPT3_S3_,@function
_Z16warp_load_kernelILj1024ELj4ELj16ELN6hipcub17WarpLoadAlgorithmE2EiEvPT3_S3_: ; @_Z16warp_load_kernelILj1024ELj4ELj16ELN6hipcub17WarpLoadAlgorithmE2EiEvPT3_S3_
; %bb.0:
	s_load_b128 s[0:3], s[0:1], 0x0
	v_mbcnt_lo_u32_b32 v1, -1, 0
	v_lshlrev_b32_e32 v4, 4, v0
	s_delay_alu instid0(VALU_DEP_2) | instskip(NEXT) | instid1(VALU_DEP_2)
	v_and_b32_e32 v0, 15, v1
	v_and_b32_e32 v1, 0x3f00, v4
	s_delay_alu instid0(VALU_DEP_2) | instskip(SKIP_1) | instid1(VALU_DEP_2)
	v_lshlrev_b32_e32 v0, 4, v0
	s_waitcnt lgkmcnt(0)
	v_add_co_u32 v1, s0, s0, v1
	s_delay_alu instid0(VALU_DEP_1) | instskip(NEXT) | instid1(VALU_DEP_2)
	v_add_co_ci_u32_e64 v2, null, s1, 0, s0
	v_add_co_u32 v0, vcc_lo, v1, v0
	s_delay_alu instid0(VALU_DEP_2)
	v_add_co_ci_u32_e32 v1, vcc_lo, 0, v2, vcc_lo
	global_load_b128 v[0:3], v[0:1], off
	s_waitcnt vmcnt(0)
	global_store_b128 v4, v[0:3], s[2:3]
	s_nop 0
	s_sendmsg sendmsg(MSG_DEALLOC_VGPRS)
	s_endpgm
	.section	.rodata,"a",@progbits
	.p2align	6, 0x0
	.amdhsa_kernel _Z16warp_load_kernelILj1024ELj4ELj16ELN6hipcub17WarpLoadAlgorithmE2EiEvPT3_S3_
		.amdhsa_group_segment_fixed_size 0
		.amdhsa_private_segment_fixed_size 0
		.amdhsa_kernarg_size 16
		.amdhsa_user_sgpr_count 15
		.amdhsa_user_sgpr_dispatch_ptr 0
		.amdhsa_user_sgpr_queue_ptr 0
		.amdhsa_user_sgpr_kernarg_segment_ptr 1
		.amdhsa_user_sgpr_dispatch_id 0
		.amdhsa_user_sgpr_private_segment_size 0
		.amdhsa_wavefront_size32 1
		.amdhsa_uses_dynamic_stack 0
		.amdhsa_enable_private_segment 0
		.amdhsa_system_sgpr_workgroup_id_x 1
		.amdhsa_system_sgpr_workgroup_id_y 0
		.amdhsa_system_sgpr_workgroup_id_z 0
		.amdhsa_system_sgpr_workgroup_info 0
		.amdhsa_system_vgpr_workitem_id 0
		.amdhsa_next_free_vgpr 5
		.amdhsa_next_free_sgpr 4
		.amdhsa_reserve_vcc 1
		.amdhsa_float_round_mode_32 0
		.amdhsa_float_round_mode_16_64 0
		.amdhsa_float_denorm_mode_32 3
		.amdhsa_float_denorm_mode_16_64 3
		.amdhsa_dx10_clamp 1
		.amdhsa_ieee_mode 1
		.amdhsa_fp16_overflow 0
		.amdhsa_workgroup_processor_mode 1
		.amdhsa_memory_ordered 1
		.amdhsa_forward_progress 0
		.amdhsa_shared_vgpr_count 0
		.amdhsa_exception_fp_ieee_invalid_op 0
		.amdhsa_exception_fp_denorm_src 0
		.amdhsa_exception_fp_ieee_div_zero 0
		.amdhsa_exception_fp_ieee_overflow 0
		.amdhsa_exception_fp_ieee_underflow 0
		.amdhsa_exception_fp_ieee_inexact 0
		.amdhsa_exception_int_div_zero 0
	.end_amdhsa_kernel
	.section	.text._Z16warp_load_kernelILj1024ELj4ELj16ELN6hipcub17WarpLoadAlgorithmE2EiEvPT3_S3_,"axG",@progbits,_Z16warp_load_kernelILj1024ELj4ELj16ELN6hipcub17WarpLoadAlgorithmE2EiEvPT3_S3_,comdat
.Lfunc_end9:
	.size	_Z16warp_load_kernelILj1024ELj4ELj16ELN6hipcub17WarpLoadAlgorithmE2EiEvPT3_S3_, .Lfunc_end9-_Z16warp_load_kernelILj1024ELj4ELj16ELN6hipcub17WarpLoadAlgorithmE2EiEvPT3_S3_
                                        ; -- End function
	.section	.AMDGPU.csdata,"",@progbits
; Kernel info:
; codeLenInByte = 116
; NumSgprs: 6
; NumVgprs: 5
; ScratchSize: 0
; MemoryBound: 0
; FloatMode: 240
; IeeeMode: 1
; LDSByteSize: 0 bytes/workgroup (compile time only)
; SGPRBlocks: 0
; VGPRBlocks: 0
; NumSGPRsForWavesPerEU: 6
; NumVGPRsForWavesPerEU: 5
; Occupancy: 16
; WaveLimiterHint : 0
; COMPUTE_PGM_RSRC2:SCRATCH_EN: 0
; COMPUTE_PGM_RSRC2:USER_SGPR: 15
; COMPUTE_PGM_RSRC2:TRAP_HANDLER: 0
; COMPUTE_PGM_RSRC2:TGID_X_EN: 1
; COMPUTE_PGM_RSRC2:TGID_Y_EN: 0
; COMPUTE_PGM_RSRC2:TGID_Z_EN: 0
; COMPUTE_PGM_RSRC2:TIDIG_COMP_CNT: 0
	.section	.text._Z16warp_load_kernelILj1024ELj4ELj16ELN6hipcub17WarpLoadAlgorithmE1EiEvPT3_S3_,"axG",@progbits,_Z16warp_load_kernelILj1024ELj4ELj16ELN6hipcub17WarpLoadAlgorithmE1EiEvPT3_S3_,comdat
	.protected	_Z16warp_load_kernelILj1024ELj4ELj16ELN6hipcub17WarpLoadAlgorithmE1EiEvPT3_S3_ ; -- Begin function _Z16warp_load_kernelILj1024ELj4ELj16ELN6hipcub17WarpLoadAlgorithmE1EiEvPT3_S3_
	.globl	_Z16warp_load_kernelILj1024ELj4ELj16ELN6hipcub17WarpLoadAlgorithmE1EiEvPT3_S3_
	.p2align	8
	.type	_Z16warp_load_kernelILj1024ELj4ELj16ELN6hipcub17WarpLoadAlgorithmE1EiEvPT3_S3_,@function
_Z16warp_load_kernelILj1024ELj4ELj16ELN6hipcub17WarpLoadAlgorithmE1EiEvPT3_S3_: ; @_Z16warp_load_kernelILj1024ELj4ELj16ELN6hipcub17WarpLoadAlgorithmE1EiEvPT3_S3_
; %bb.0:
	s_load_b128 s[0:3], s[0:1], 0x0
	v_mbcnt_lo_u32_b32 v1, -1, 0
	v_lshlrev_b32_e32 v5, 4, v0
	s_delay_alu instid0(VALU_DEP_2) | instskip(NEXT) | instid1(VALU_DEP_2)
	v_and_b32_e32 v0, 15, v1
	v_and_b32_e32 v1, 0x3f00, v5
	s_delay_alu instid0(VALU_DEP_2) | instskip(SKIP_1) | instid1(VALU_DEP_2)
	v_lshlrev_b32_e32 v0, 2, v0
	s_waitcnt lgkmcnt(0)
	v_add_co_u32 v1, s0, s0, v1
	s_delay_alu instid0(VALU_DEP_1) | instskip(NEXT) | instid1(VALU_DEP_2)
	v_add_co_ci_u32_e64 v2, null, s1, 0, s0
	v_add_co_u32 v3, vcc_lo, v1, v0
	s_delay_alu instid0(VALU_DEP_2)
	v_add_co_ci_u32_e32 v4, vcc_lo, 0, v2, vcc_lo
	s_clause 0x3
	global_load_b32 v0, v[3:4], off
	global_load_b32 v1, v[3:4], off offset:64
	global_load_b32 v2, v[3:4], off offset:128
	;; [unrolled: 1-line block ×3, first 2 shown]
	s_waitcnt vmcnt(0)
	global_store_b128 v5, v[0:3], s[2:3]
	s_nop 0
	s_sendmsg sendmsg(MSG_DEALLOC_VGPRS)
	s_endpgm
	.section	.rodata,"a",@progbits
	.p2align	6, 0x0
	.amdhsa_kernel _Z16warp_load_kernelILj1024ELj4ELj16ELN6hipcub17WarpLoadAlgorithmE1EiEvPT3_S3_
		.amdhsa_group_segment_fixed_size 0
		.amdhsa_private_segment_fixed_size 0
		.amdhsa_kernarg_size 16
		.amdhsa_user_sgpr_count 15
		.amdhsa_user_sgpr_dispatch_ptr 0
		.amdhsa_user_sgpr_queue_ptr 0
		.amdhsa_user_sgpr_kernarg_segment_ptr 1
		.amdhsa_user_sgpr_dispatch_id 0
		.amdhsa_user_sgpr_private_segment_size 0
		.amdhsa_wavefront_size32 1
		.amdhsa_uses_dynamic_stack 0
		.amdhsa_enable_private_segment 0
		.amdhsa_system_sgpr_workgroup_id_x 1
		.amdhsa_system_sgpr_workgroup_id_y 0
		.amdhsa_system_sgpr_workgroup_id_z 0
		.amdhsa_system_sgpr_workgroup_info 0
		.amdhsa_system_vgpr_workitem_id 0
		.amdhsa_next_free_vgpr 6
		.amdhsa_next_free_sgpr 4
		.amdhsa_reserve_vcc 1
		.amdhsa_float_round_mode_32 0
		.amdhsa_float_round_mode_16_64 0
		.amdhsa_float_denorm_mode_32 3
		.amdhsa_float_denorm_mode_16_64 3
		.amdhsa_dx10_clamp 1
		.amdhsa_ieee_mode 1
		.amdhsa_fp16_overflow 0
		.amdhsa_workgroup_processor_mode 1
		.amdhsa_memory_ordered 1
		.amdhsa_forward_progress 0
		.amdhsa_shared_vgpr_count 0
		.amdhsa_exception_fp_ieee_invalid_op 0
		.amdhsa_exception_fp_denorm_src 0
		.amdhsa_exception_fp_ieee_div_zero 0
		.amdhsa_exception_fp_ieee_overflow 0
		.amdhsa_exception_fp_ieee_underflow 0
		.amdhsa_exception_fp_ieee_inexact 0
		.amdhsa_exception_int_div_zero 0
	.end_amdhsa_kernel
	.section	.text._Z16warp_load_kernelILj1024ELj4ELj16ELN6hipcub17WarpLoadAlgorithmE1EiEvPT3_S3_,"axG",@progbits,_Z16warp_load_kernelILj1024ELj4ELj16ELN6hipcub17WarpLoadAlgorithmE1EiEvPT3_S3_,comdat
.Lfunc_end10:
	.size	_Z16warp_load_kernelILj1024ELj4ELj16ELN6hipcub17WarpLoadAlgorithmE1EiEvPT3_S3_, .Lfunc_end10-_Z16warp_load_kernelILj1024ELj4ELj16ELN6hipcub17WarpLoadAlgorithmE1EiEvPT3_S3_
                                        ; -- End function
	.section	.AMDGPU.csdata,"",@progbits
; Kernel info:
; codeLenInByte = 144
; NumSgprs: 6
; NumVgprs: 6
; ScratchSize: 0
; MemoryBound: 0
; FloatMode: 240
; IeeeMode: 1
; LDSByteSize: 0 bytes/workgroup (compile time only)
; SGPRBlocks: 0
; VGPRBlocks: 0
; NumSGPRsForWavesPerEU: 6
; NumVGPRsForWavesPerEU: 6
; Occupancy: 16
; WaveLimiterHint : 0
; COMPUTE_PGM_RSRC2:SCRATCH_EN: 0
; COMPUTE_PGM_RSRC2:USER_SGPR: 15
; COMPUTE_PGM_RSRC2:TRAP_HANDLER: 0
; COMPUTE_PGM_RSRC2:TGID_X_EN: 1
; COMPUTE_PGM_RSRC2:TGID_Y_EN: 0
; COMPUTE_PGM_RSRC2:TGID_Z_EN: 0
; COMPUTE_PGM_RSRC2:TIDIG_COMP_CNT: 0
	.section	.text._Z16warp_load_kernelILj1024ELj4ELj16ELN6hipcub17WarpLoadAlgorithmE0EiEvPT3_S3_,"axG",@progbits,_Z16warp_load_kernelILj1024ELj4ELj16ELN6hipcub17WarpLoadAlgorithmE0EiEvPT3_S3_,comdat
	.protected	_Z16warp_load_kernelILj1024ELj4ELj16ELN6hipcub17WarpLoadAlgorithmE0EiEvPT3_S3_ ; -- Begin function _Z16warp_load_kernelILj1024ELj4ELj16ELN6hipcub17WarpLoadAlgorithmE0EiEvPT3_S3_
	.globl	_Z16warp_load_kernelILj1024ELj4ELj16ELN6hipcub17WarpLoadAlgorithmE0EiEvPT3_S3_
	.p2align	8
	.type	_Z16warp_load_kernelILj1024ELj4ELj16ELN6hipcub17WarpLoadAlgorithmE0EiEvPT3_S3_,@function
_Z16warp_load_kernelILj1024ELj4ELj16ELN6hipcub17WarpLoadAlgorithmE0EiEvPT3_S3_: ; @_Z16warp_load_kernelILj1024ELj4ELj16ELN6hipcub17WarpLoadAlgorithmE0EiEvPT3_S3_
; %bb.0:
	s_load_b128 s[0:3], s[0:1], 0x0
	v_mbcnt_lo_u32_b32 v1, -1, 0
	v_lshlrev_b32_e32 v4, 4, v0
	s_delay_alu instid0(VALU_DEP_2) | instskip(NEXT) | instid1(VALU_DEP_2)
	v_lshlrev_b32_e32 v0, 4, v1
	v_and_b32_e32 v1, 0x3f00, v4
	s_delay_alu instid0(VALU_DEP_2) | instskip(SKIP_1) | instid1(VALU_DEP_2)
	v_and_b32_e32 v0, 0xf0, v0
	s_waitcnt lgkmcnt(0)
	v_add_co_u32 v1, s0, s0, v1
	s_delay_alu instid0(VALU_DEP_1) | instskip(NEXT) | instid1(VALU_DEP_2)
	v_add_co_ci_u32_e64 v2, null, s1, 0, s0
	v_add_co_u32 v0, vcc_lo, v1, v0
	s_delay_alu instid0(VALU_DEP_2)
	v_add_co_ci_u32_e32 v1, vcc_lo, 0, v2, vcc_lo
	global_load_b128 v[0:3], v[0:1], off
	s_waitcnt vmcnt(0)
	global_store_b128 v4, v[0:3], s[2:3]
	s_nop 0
	s_sendmsg sendmsg(MSG_DEALLOC_VGPRS)
	s_endpgm
	.section	.rodata,"a",@progbits
	.p2align	6, 0x0
	.amdhsa_kernel _Z16warp_load_kernelILj1024ELj4ELj16ELN6hipcub17WarpLoadAlgorithmE0EiEvPT3_S3_
		.amdhsa_group_segment_fixed_size 0
		.amdhsa_private_segment_fixed_size 0
		.amdhsa_kernarg_size 16
		.amdhsa_user_sgpr_count 15
		.amdhsa_user_sgpr_dispatch_ptr 0
		.amdhsa_user_sgpr_queue_ptr 0
		.amdhsa_user_sgpr_kernarg_segment_ptr 1
		.amdhsa_user_sgpr_dispatch_id 0
		.amdhsa_user_sgpr_private_segment_size 0
		.amdhsa_wavefront_size32 1
		.amdhsa_uses_dynamic_stack 0
		.amdhsa_enable_private_segment 0
		.amdhsa_system_sgpr_workgroup_id_x 1
		.amdhsa_system_sgpr_workgroup_id_y 0
		.amdhsa_system_sgpr_workgroup_id_z 0
		.amdhsa_system_sgpr_workgroup_info 0
		.amdhsa_system_vgpr_workitem_id 0
		.amdhsa_next_free_vgpr 5
		.amdhsa_next_free_sgpr 4
		.amdhsa_reserve_vcc 1
		.amdhsa_float_round_mode_32 0
		.amdhsa_float_round_mode_16_64 0
		.amdhsa_float_denorm_mode_32 3
		.amdhsa_float_denorm_mode_16_64 3
		.amdhsa_dx10_clamp 1
		.amdhsa_ieee_mode 1
		.amdhsa_fp16_overflow 0
		.amdhsa_workgroup_processor_mode 1
		.amdhsa_memory_ordered 1
		.amdhsa_forward_progress 0
		.amdhsa_shared_vgpr_count 0
		.amdhsa_exception_fp_ieee_invalid_op 0
		.amdhsa_exception_fp_denorm_src 0
		.amdhsa_exception_fp_ieee_div_zero 0
		.amdhsa_exception_fp_ieee_overflow 0
		.amdhsa_exception_fp_ieee_underflow 0
		.amdhsa_exception_fp_ieee_inexact 0
		.amdhsa_exception_int_div_zero 0
	.end_amdhsa_kernel
	.section	.text._Z16warp_load_kernelILj1024ELj4ELj16ELN6hipcub17WarpLoadAlgorithmE0EiEvPT3_S3_,"axG",@progbits,_Z16warp_load_kernelILj1024ELj4ELj16ELN6hipcub17WarpLoadAlgorithmE0EiEvPT3_S3_,comdat
.Lfunc_end11:
	.size	_Z16warp_load_kernelILj1024ELj4ELj16ELN6hipcub17WarpLoadAlgorithmE0EiEvPT3_S3_, .Lfunc_end11-_Z16warp_load_kernelILj1024ELj4ELj16ELN6hipcub17WarpLoadAlgorithmE0EiEvPT3_S3_
                                        ; -- End function
	.section	.AMDGPU.csdata,"",@progbits
; Kernel info:
; codeLenInByte = 120
; NumSgprs: 6
; NumVgprs: 5
; ScratchSize: 0
; MemoryBound: 0
; FloatMode: 240
; IeeeMode: 1
; LDSByteSize: 0 bytes/workgroup (compile time only)
; SGPRBlocks: 0
; VGPRBlocks: 0
; NumSGPRsForWavesPerEU: 6
; NumVGPRsForWavesPerEU: 5
; Occupancy: 16
; WaveLimiterHint : 0
; COMPUTE_PGM_RSRC2:SCRATCH_EN: 0
; COMPUTE_PGM_RSRC2:USER_SGPR: 15
; COMPUTE_PGM_RSRC2:TRAP_HANDLER: 0
; COMPUTE_PGM_RSRC2:TGID_X_EN: 1
; COMPUTE_PGM_RSRC2:TGID_Y_EN: 0
; COMPUTE_PGM_RSRC2:TGID_Z_EN: 0
; COMPUTE_PGM_RSRC2:TIDIG_COMP_CNT: 0
	.section	.text._Z16warp_load_kernelILj1024ELj4ELj1ELN6hipcub17WarpLoadAlgorithmE3EiEvPT3_S3_,"axG",@progbits,_Z16warp_load_kernelILj1024ELj4ELj1ELN6hipcub17WarpLoadAlgorithmE3EiEvPT3_S3_,comdat
	.protected	_Z16warp_load_kernelILj1024ELj4ELj1ELN6hipcub17WarpLoadAlgorithmE3EiEvPT3_S3_ ; -- Begin function _Z16warp_load_kernelILj1024ELj4ELj1ELN6hipcub17WarpLoadAlgorithmE3EiEvPT3_S3_
	.globl	_Z16warp_load_kernelILj1024ELj4ELj1ELN6hipcub17WarpLoadAlgorithmE3EiEvPT3_S3_
	.p2align	8
	.type	_Z16warp_load_kernelILj1024ELj4ELj1ELN6hipcub17WarpLoadAlgorithmE3EiEvPT3_S3_,@function
_Z16warp_load_kernelILj1024ELj4ELj1ELN6hipcub17WarpLoadAlgorithmE3EiEvPT3_S3_: ; @_Z16warp_load_kernelILj1024ELj4ELj1ELN6hipcub17WarpLoadAlgorithmE3EiEvPT3_S3_
; %bb.0:
	s_load_b128 s[0:3], s[0:1], 0x0
	v_lshlrev_b32_e32 v4, 4, v0
	s_waitcnt lgkmcnt(0)
	global_load_b128 v[0:3], v4, s[0:1]
	s_waitcnt vmcnt(0)
	ds_store_b128 v4, v[0:3]
	; wave barrier
	ds_load_b128 v[0:3], v4
	s_waitcnt lgkmcnt(0)
	global_store_b128 v4, v[0:3], s[2:3]
	s_nop 0
	s_sendmsg sendmsg(MSG_DEALLOC_VGPRS)
	s_endpgm
	.section	.rodata,"a",@progbits
	.p2align	6, 0x0
	.amdhsa_kernel _Z16warp_load_kernelILj1024ELj4ELj1ELN6hipcub17WarpLoadAlgorithmE3EiEvPT3_S3_
		.amdhsa_group_segment_fixed_size 16384
		.amdhsa_private_segment_fixed_size 0
		.amdhsa_kernarg_size 16
		.amdhsa_user_sgpr_count 15
		.amdhsa_user_sgpr_dispatch_ptr 0
		.amdhsa_user_sgpr_queue_ptr 0
		.amdhsa_user_sgpr_kernarg_segment_ptr 1
		.amdhsa_user_sgpr_dispatch_id 0
		.amdhsa_user_sgpr_private_segment_size 0
		.amdhsa_wavefront_size32 1
		.amdhsa_uses_dynamic_stack 0
		.amdhsa_enable_private_segment 0
		.amdhsa_system_sgpr_workgroup_id_x 1
		.amdhsa_system_sgpr_workgroup_id_y 0
		.amdhsa_system_sgpr_workgroup_id_z 0
		.amdhsa_system_sgpr_workgroup_info 0
		.amdhsa_system_vgpr_workitem_id 0
		.amdhsa_next_free_vgpr 5
		.amdhsa_next_free_sgpr 4
		.amdhsa_reserve_vcc 0
		.amdhsa_float_round_mode_32 0
		.amdhsa_float_round_mode_16_64 0
		.amdhsa_float_denorm_mode_32 3
		.amdhsa_float_denorm_mode_16_64 3
		.amdhsa_dx10_clamp 1
		.amdhsa_ieee_mode 1
		.amdhsa_fp16_overflow 0
		.amdhsa_workgroup_processor_mode 1
		.amdhsa_memory_ordered 1
		.amdhsa_forward_progress 0
		.amdhsa_shared_vgpr_count 0
		.amdhsa_exception_fp_ieee_invalid_op 0
		.amdhsa_exception_fp_denorm_src 0
		.amdhsa_exception_fp_ieee_div_zero 0
		.amdhsa_exception_fp_ieee_overflow 0
		.amdhsa_exception_fp_ieee_underflow 0
		.amdhsa_exception_fp_ieee_inexact 0
		.amdhsa_exception_int_div_zero 0
	.end_amdhsa_kernel
	.section	.text._Z16warp_load_kernelILj1024ELj4ELj1ELN6hipcub17WarpLoadAlgorithmE3EiEvPT3_S3_,"axG",@progbits,_Z16warp_load_kernelILj1024ELj4ELj1ELN6hipcub17WarpLoadAlgorithmE3EiEvPT3_S3_,comdat
.Lfunc_end12:
	.size	_Z16warp_load_kernelILj1024ELj4ELj1ELN6hipcub17WarpLoadAlgorithmE3EiEvPT3_S3_, .Lfunc_end12-_Z16warp_load_kernelILj1024ELj4ELj1ELN6hipcub17WarpLoadAlgorithmE3EiEvPT3_S3_
                                        ; -- End function
	.section	.AMDGPU.csdata,"",@progbits
; Kernel info:
; codeLenInByte = 68
; NumSgprs: 4
; NumVgprs: 5
; ScratchSize: 0
; MemoryBound: 0
; FloatMode: 240
; IeeeMode: 1
; LDSByteSize: 16384 bytes/workgroup (compile time only)
; SGPRBlocks: 0
; VGPRBlocks: 0
; NumSGPRsForWavesPerEU: 4
; NumVGPRsForWavesPerEU: 5
; Occupancy: 16
; WaveLimiterHint : 0
; COMPUTE_PGM_RSRC2:SCRATCH_EN: 0
; COMPUTE_PGM_RSRC2:USER_SGPR: 15
; COMPUTE_PGM_RSRC2:TRAP_HANDLER: 0
; COMPUTE_PGM_RSRC2:TGID_X_EN: 1
; COMPUTE_PGM_RSRC2:TGID_Y_EN: 0
; COMPUTE_PGM_RSRC2:TGID_Z_EN: 0
; COMPUTE_PGM_RSRC2:TIDIG_COMP_CNT: 0
	.section	.text._Z16warp_load_kernelILj1024ELj4ELj1ELN6hipcub17WarpLoadAlgorithmE2EiEvPT3_S3_,"axG",@progbits,_Z16warp_load_kernelILj1024ELj4ELj1ELN6hipcub17WarpLoadAlgorithmE2EiEvPT3_S3_,comdat
	.protected	_Z16warp_load_kernelILj1024ELj4ELj1ELN6hipcub17WarpLoadAlgorithmE2EiEvPT3_S3_ ; -- Begin function _Z16warp_load_kernelILj1024ELj4ELj1ELN6hipcub17WarpLoadAlgorithmE2EiEvPT3_S3_
	.globl	_Z16warp_load_kernelILj1024ELj4ELj1ELN6hipcub17WarpLoadAlgorithmE2EiEvPT3_S3_
	.p2align	8
	.type	_Z16warp_load_kernelILj1024ELj4ELj1ELN6hipcub17WarpLoadAlgorithmE2EiEvPT3_S3_,@function
_Z16warp_load_kernelILj1024ELj4ELj1ELN6hipcub17WarpLoadAlgorithmE2EiEvPT3_S3_: ; @_Z16warp_load_kernelILj1024ELj4ELj1ELN6hipcub17WarpLoadAlgorithmE2EiEvPT3_S3_
; %bb.0:
	s_load_b128 s[0:3], s[0:1], 0x0
	v_lshlrev_b32_e32 v4, 4, v0
	s_waitcnt lgkmcnt(0)
	global_load_b128 v[0:3], v4, s[0:1]
	s_waitcnt vmcnt(0)
	global_store_b128 v4, v[0:3], s[2:3]
	s_nop 0
	s_sendmsg sendmsg(MSG_DEALLOC_VGPRS)
	s_endpgm
	.section	.rodata,"a",@progbits
	.p2align	6, 0x0
	.amdhsa_kernel _Z16warp_load_kernelILj1024ELj4ELj1ELN6hipcub17WarpLoadAlgorithmE2EiEvPT3_S3_
		.amdhsa_group_segment_fixed_size 0
		.amdhsa_private_segment_fixed_size 0
		.amdhsa_kernarg_size 16
		.amdhsa_user_sgpr_count 15
		.amdhsa_user_sgpr_dispatch_ptr 0
		.amdhsa_user_sgpr_queue_ptr 0
		.amdhsa_user_sgpr_kernarg_segment_ptr 1
		.amdhsa_user_sgpr_dispatch_id 0
		.amdhsa_user_sgpr_private_segment_size 0
		.amdhsa_wavefront_size32 1
		.amdhsa_uses_dynamic_stack 0
		.amdhsa_enable_private_segment 0
		.amdhsa_system_sgpr_workgroup_id_x 1
		.amdhsa_system_sgpr_workgroup_id_y 0
		.amdhsa_system_sgpr_workgroup_id_z 0
		.amdhsa_system_sgpr_workgroup_info 0
		.amdhsa_system_vgpr_workitem_id 0
		.amdhsa_next_free_vgpr 5
		.amdhsa_next_free_sgpr 4
		.amdhsa_reserve_vcc 0
		.amdhsa_float_round_mode_32 0
		.amdhsa_float_round_mode_16_64 0
		.amdhsa_float_denorm_mode_32 3
		.amdhsa_float_denorm_mode_16_64 3
		.amdhsa_dx10_clamp 1
		.amdhsa_ieee_mode 1
		.amdhsa_fp16_overflow 0
		.amdhsa_workgroup_processor_mode 1
		.amdhsa_memory_ordered 1
		.amdhsa_forward_progress 0
		.amdhsa_shared_vgpr_count 0
		.amdhsa_exception_fp_ieee_invalid_op 0
		.amdhsa_exception_fp_denorm_src 0
		.amdhsa_exception_fp_ieee_div_zero 0
		.amdhsa_exception_fp_ieee_overflow 0
		.amdhsa_exception_fp_ieee_underflow 0
		.amdhsa_exception_fp_ieee_inexact 0
		.amdhsa_exception_int_div_zero 0
	.end_amdhsa_kernel
	.section	.text._Z16warp_load_kernelILj1024ELj4ELj1ELN6hipcub17WarpLoadAlgorithmE2EiEvPT3_S3_,"axG",@progbits,_Z16warp_load_kernelILj1024ELj4ELj1ELN6hipcub17WarpLoadAlgorithmE2EiEvPT3_S3_,comdat
.Lfunc_end13:
	.size	_Z16warp_load_kernelILj1024ELj4ELj1ELN6hipcub17WarpLoadAlgorithmE2EiEvPT3_S3_, .Lfunc_end13-_Z16warp_load_kernelILj1024ELj4ELj1ELN6hipcub17WarpLoadAlgorithmE2EiEvPT3_S3_
                                        ; -- End function
	.section	.AMDGPU.csdata,"",@progbits
; Kernel info:
; codeLenInByte = 48
; NumSgprs: 4
; NumVgprs: 5
; ScratchSize: 0
; MemoryBound: 0
; FloatMode: 240
; IeeeMode: 1
; LDSByteSize: 0 bytes/workgroup (compile time only)
; SGPRBlocks: 0
; VGPRBlocks: 0
; NumSGPRsForWavesPerEU: 4
; NumVGPRsForWavesPerEU: 5
; Occupancy: 16
; WaveLimiterHint : 0
; COMPUTE_PGM_RSRC2:SCRATCH_EN: 0
; COMPUTE_PGM_RSRC2:USER_SGPR: 15
; COMPUTE_PGM_RSRC2:TRAP_HANDLER: 0
; COMPUTE_PGM_RSRC2:TGID_X_EN: 1
; COMPUTE_PGM_RSRC2:TGID_Y_EN: 0
; COMPUTE_PGM_RSRC2:TGID_Z_EN: 0
; COMPUTE_PGM_RSRC2:TIDIG_COMP_CNT: 0
	.section	.text._Z16warp_load_kernelILj1024ELj4ELj1ELN6hipcub17WarpLoadAlgorithmE1EiEvPT3_S3_,"axG",@progbits,_Z16warp_load_kernelILj1024ELj4ELj1ELN6hipcub17WarpLoadAlgorithmE1EiEvPT3_S3_,comdat
	.protected	_Z16warp_load_kernelILj1024ELj4ELj1ELN6hipcub17WarpLoadAlgorithmE1EiEvPT3_S3_ ; -- Begin function _Z16warp_load_kernelILj1024ELj4ELj1ELN6hipcub17WarpLoadAlgorithmE1EiEvPT3_S3_
	.globl	_Z16warp_load_kernelILj1024ELj4ELj1ELN6hipcub17WarpLoadAlgorithmE1EiEvPT3_S3_
	.p2align	8
	.type	_Z16warp_load_kernelILj1024ELj4ELj1ELN6hipcub17WarpLoadAlgorithmE1EiEvPT3_S3_,@function
_Z16warp_load_kernelILj1024ELj4ELj1ELN6hipcub17WarpLoadAlgorithmE1EiEvPT3_S3_: ; @_Z16warp_load_kernelILj1024ELj4ELj1ELN6hipcub17WarpLoadAlgorithmE1EiEvPT3_S3_
; %bb.0:
	s_load_b128 s[0:3], s[0:1], 0x0
	v_lshlrev_b32_e32 v4, 4, v0
	s_waitcnt lgkmcnt(0)
	global_load_b128 v[0:3], v4, s[0:1]
	s_waitcnt vmcnt(0)
	global_store_b128 v4, v[0:3], s[2:3]
	s_nop 0
	s_sendmsg sendmsg(MSG_DEALLOC_VGPRS)
	s_endpgm
	.section	.rodata,"a",@progbits
	.p2align	6, 0x0
	.amdhsa_kernel _Z16warp_load_kernelILj1024ELj4ELj1ELN6hipcub17WarpLoadAlgorithmE1EiEvPT3_S3_
		.amdhsa_group_segment_fixed_size 0
		.amdhsa_private_segment_fixed_size 0
		.amdhsa_kernarg_size 16
		.amdhsa_user_sgpr_count 15
		.amdhsa_user_sgpr_dispatch_ptr 0
		.amdhsa_user_sgpr_queue_ptr 0
		.amdhsa_user_sgpr_kernarg_segment_ptr 1
		.amdhsa_user_sgpr_dispatch_id 0
		.amdhsa_user_sgpr_private_segment_size 0
		.amdhsa_wavefront_size32 1
		.amdhsa_uses_dynamic_stack 0
		.amdhsa_enable_private_segment 0
		.amdhsa_system_sgpr_workgroup_id_x 1
		.amdhsa_system_sgpr_workgroup_id_y 0
		.amdhsa_system_sgpr_workgroup_id_z 0
		.amdhsa_system_sgpr_workgroup_info 0
		.amdhsa_system_vgpr_workitem_id 0
		.amdhsa_next_free_vgpr 5
		.amdhsa_next_free_sgpr 4
		.amdhsa_reserve_vcc 0
		.amdhsa_float_round_mode_32 0
		.amdhsa_float_round_mode_16_64 0
		.amdhsa_float_denorm_mode_32 3
		.amdhsa_float_denorm_mode_16_64 3
		.amdhsa_dx10_clamp 1
		.amdhsa_ieee_mode 1
		.amdhsa_fp16_overflow 0
		.amdhsa_workgroup_processor_mode 1
		.amdhsa_memory_ordered 1
		.amdhsa_forward_progress 0
		.amdhsa_shared_vgpr_count 0
		.amdhsa_exception_fp_ieee_invalid_op 0
		.amdhsa_exception_fp_denorm_src 0
		.amdhsa_exception_fp_ieee_div_zero 0
		.amdhsa_exception_fp_ieee_overflow 0
		.amdhsa_exception_fp_ieee_underflow 0
		.amdhsa_exception_fp_ieee_inexact 0
		.amdhsa_exception_int_div_zero 0
	.end_amdhsa_kernel
	.section	.text._Z16warp_load_kernelILj1024ELj4ELj1ELN6hipcub17WarpLoadAlgorithmE1EiEvPT3_S3_,"axG",@progbits,_Z16warp_load_kernelILj1024ELj4ELj1ELN6hipcub17WarpLoadAlgorithmE1EiEvPT3_S3_,comdat
.Lfunc_end14:
	.size	_Z16warp_load_kernelILj1024ELj4ELj1ELN6hipcub17WarpLoadAlgorithmE1EiEvPT3_S3_, .Lfunc_end14-_Z16warp_load_kernelILj1024ELj4ELj1ELN6hipcub17WarpLoadAlgorithmE1EiEvPT3_S3_
                                        ; -- End function
	.section	.AMDGPU.csdata,"",@progbits
; Kernel info:
; codeLenInByte = 48
; NumSgprs: 4
; NumVgprs: 5
; ScratchSize: 0
; MemoryBound: 0
; FloatMode: 240
; IeeeMode: 1
; LDSByteSize: 0 bytes/workgroup (compile time only)
; SGPRBlocks: 0
; VGPRBlocks: 0
; NumSGPRsForWavesPerEU: 4
; NumVGPRsForWavesPerEU: 5
; Occupancy: 16
; WaveLimiterHint : 0
; COMPUTE_PGM_RSRC2:SCRATCH_EN: 0
; COMPUTE_PGM_RSRC2:USER_SGPR: 15
; COMPUTE_PGM_RSRC2:TRAP_HANDLER: 0
; COMPUTE_PGM_RSRC2:TGID_X_EN: 1
; COMPUTE_PGM_RSRC2:TGID_Y_EN: 0
; COMPUTE_PGM_RSRC2:TGID_Z_EN: 0
; COMPUTE_PGM_RSRC2:TIDIG_COMP_CNT: 0
	.section	.text._Z16warp_load_kernelILj1024ELj4ELj1ELN6hipcub17WarpLoadAlgorithmE0EiEvPT3_S3_,"axG",@progbits,_Z16warp_load_kernelILj1024ELj4ELj1ELN6hipcub17WarpLoadAlgorithmE0EiEvPT3_S3_,comdat
	.protected	_Z16warp_load_kernelILj1024ELj4ELj1ELN6hipcub17WarpLoadAlgorithmE0EiEvPT3_S3_ ; -- Begin function _Z16warp_load_kernelILj1024ELj4ELj1ELN6hipcub17WarpLoadAlgorithmE0EiEvPT3_S3_
	.globl	_Z16warp_load_kernelILj1024ELj4ELj1ELN6hipcub17WarpLoadAlgorithmE0EiEvPT3_S3_
	.p2align	8
	.type	_Z16warp_load_kernelILj1024ELj4ELj1ELN6hipcub17WarpLoadAlgorithmE0EiEvPT3_S3_,@function
_Z16warp_load_kernelILj1024ELj4ELj1ELN6hipcub17WarpLoadAlgorithmE0EiEvPT3_S3_: ; @_Z16warp_load_kernelILj1024ELj4ELj1ELN6hipcub17WarpLoadAlgorithmE0EiEvPT3_S3_
; %bb.0:
	s_load_b128 s[0:3], s[0:1], 0x0
	v_lshlrev_b32_e32 v4, 4, v0
	s_waitcnt lgkmcnt(0)
	global_load_b128 v[0:3], v4, s[0:1]
	s_waitcnt vmcnt(0)
	global_store_b128 v4, v[0:3], s[2:3]
	s_nop 0
	s_sendmsg sendmsg(MSG_DEALLOC_VGPRS)
	s_endpgm
	.section	.rodata,"a",@progbits
	.p2align	6, 0x0
	.amdhsa_kernel _Z16warp_load_kernelILj1024ELj4ELj1ELN6hipcub17WarpLoadAlgorithmE0EiEvPT3_S3_
		.amdhsa_group_segment_fixed_size 0
		.amdhsa_private_segment_fixed_size 0
		.amdhsa_kernarg_size 16
		.amdhsa_user_sgpr_count 15
		.amdhsa_user_sgpr_dispatch_ptr 0
		.amdhsa_user_sgpr_queue_ptr 0
		.amdhsa_user_sgpr_kernarg_segment_ptr 1
		.amdhsa_user_sgpr_dispatch_id 0
		.amdhsa_user_sgpr_private_segment_size 0
		.amdhsa_wavefront_size32 1
		.amdhsa_uses_dynamic_stack 0
		.amdhsa_enable_private_segment 0
		.amdhsa_system_sgpr_workgroup_id_x 1
		.amdhsa_system_sgpr_workgroup_id_y 0
		.amdhsa_system_sgpr_workgroup_id_z 0
		.amdhsa_system_sgpr_workgroup_info 0
		.amdhsa_system_vgpr_workitem_id 0
		.amdhsa_next_free_vgpr 5
		.amdhsa_next_free_sgpr 4
		.amdhsa_reserve_vcc 0
		.amdhsa_float_round_mode_32 0
		.amdhsa_float_round_mode_16_64 0
		.amdhsa_float_denorm_mode_32 3
		.amdhsa_float_denorm_mode_16_64 3
		.amdhsa_dx10_clamp 1
		.amdhsa_ieee_mode 1
		.amdhsa_fp16_overflow 0
		.amdhsa_workgroup_processor_mode 1
		.amdhsa_memory_ordered 1
		.amdhsa_forward_progress 0
		.amdhsa_shared_vgpr_count 0
		.amdhsa_exception_fp_ieee_invalid_op 0
		.amdhsa_exception_fp_denorm_src 0
		.amdhsa_exception_fp_ieee_div_zero 0
		.amdhsa_exception_fp_ieee_overflow 0
		.amdhsa_exception_fp_ieee_underflow 0
		.amdhsa_exception_fp_ieee_inexact 0
		.amdhsa_exception_int_div_zero 0
	.end_amdhsa_kernel
	.section	.text._Z16warp_load_kernelILj1024ELj4ELj1ELN6hipcub17WarpLoadAlgorithmE0EiEvPT3_S3_,"axG",@progbits,_Z16warp_load_kernelILj1024ELj4ELj1ELN6hipcub17WarpLoadAlgorithmE0EiEvPT3_S3_,comdat
.Lfunc_end15:
	.size	_Z16warp_load_kernelILj1024ELj4ELj1ELN6hipcub17WarpLoadAlgorithmE0EiEvPT3_S3_, .Lfunc_end15-_Z16warp_load_kernelILj1024ELj4ELj1ELN6hipcub17WarpLoadAlgorithmE0EiEvPT3_S3_
                                        ; -- End function
	.section	.AMDGPU.csdata,"",@progbits
; Kernel info:
; codeLenInByte = 48
; NumSgprs: 4
; NumVgprs: 5
; ScratchSize: 0
; MemoryBound: 0
; FloatMode: 240
; IeeeMode: 1
; LDSByteSize: 0 bytes/workgroup (compile time only)
; SGPRBlocks: 0
; VGPRBlocks: 0
; NumSGPRsForWavesPerEU: 4
; NumVGPRsForWavesPerEU: 5
; Occupancy: 16
; WaveLimiterHint : 0
; COMPUTE_PGM_RSRC2:SCRATCH_EN: 0
; COMPUTE_PGM_RSRC2:USER_SGPR: 15
; COMPUTE_PGM_RSRC2:TRAP_HANDLER: 0
; COMPUTE_PGM_RSRC2:TGID_X_EN: 1
; COMPUTE_PGM_RSRC2:TGID_Y_EN: 0
; COMPUTE_PGM_RSRC2:TGID_Z_EN: 0
; COMPUTE_PGM_RSRC2:TIDIG_COMP_CNT: 0
	.section	.text._Z24warp_load_guarded_kernelILj1024ELj4ELj64ELN6hipcub17WarpLoadAlgorithmE3EiEvPT3_S3_iS2_,"axG",@progbits,_Z24warp_load_guarded_kernelILj1024ELj4ELj64ELN6hipcub17WarpLoadAlgorithmE3EiEvPT3_S3_iS2_,comdat
	.protected	_Z24warp_load_guarded_kernelILj1024ELj4ELj64ELN6hipcub17WarpLoadAlgorithmE3EiEvPT3_S3_iS2_ ; -- Begin function _Z24warp_load_guarded_kernelILj1024ELj4ELj64ELN6hipcub17WarpLoadAlgorithmE3EiEvPT3_S3_iS2_
	.globl	_Z24warp_load_guarded_kernelILj1024ELj4ELj64ELN6hipcub17WarpLoadAlgorithmE3EiEvPT3_S3_iS2_
	.p2align	8
	.type	_Z24warp_load_guarded_kernelILj1024ELj4ELj64ELN6hipcub17WarpLoadAlgorithmE3EiEvPT3_S3_iS2_,@function
_Z24warp_load_guarded_kernelILj1024ELj4ELj64ELN6hipcub17WarpLoadAlgorithmE3EiEvPT3_S3_iS2_: ; @_Z24warp_load_guarded_kernelILj1024ELj4ELj64ELN6hipcub17WarpLoadAlgorithmE3EiEvPT3_S3_iS2_
; %bb.0:
	s_endpgm
	.section	.rodata,"a",@progbits
	.p2align	6, 0x0
	.amdhsa_kernel _Z24warp_load_guarded_kernelILj1024ELj4ELj64ELN6hipcub17WarpLoadAlgorithmE3EiEvPT3_S3_iS2_
		.amdhsa_group_segment_fixed_size 0
		.amdhsa_private_segment_fixed_size 0
		.amdhsa_kernarg_size 24
		.amdhsa_user_sgpr_count 15
		.amdhsa_user_sgpr_dispatch_ptr 0
		.amdhsa_user_sgpr_queue_ptr 0
		.amdhsa_user_sgpr_kernarg_segment_ptr 1
		.amdhsa_user_sgpr_dispatch_id 0
		.amdhsa_user_sgpr_private_segment_size 0
		.amdhsa_wavefront_size32 1
		.amdhsa_uses_dynamic_stack 0
		.amdhsa_enable_private_segment 0
		.amdhsa_system_sgpr_workgroup_id_x 1
		.amdhsa_system_sgpr_workgroup_id_y 0
		.amdhsa_system_sgpr_workgroup_id_z 0
		.amdhsa_system_sgpr_workgroup_info 0
		.amdhsa_system_vgpr_workitem_id 0
		.amdhsa_next_free_vgpr 1
		.amdhsa_next_free_sgpr 1
		.amdhsa_reserve_vcc 0
		.amdhsa_float_round_mode_32 0
		.amdhsa_float_round_mode_16_64 0
		.amdhsa_float_denorm_mode_32 3
		.amdhsa_float_denorm_mode_16_64 3
		.amdhsa_dx10_clamp 1
		.amdhsa_ieee_mode 1
		.amdhsa_fp16_overflow 0
		.amdhsa_workgroup_processor_mode 1
		.amdhsa_memory_ordered 1
		.amdhsa_forward_progress 0
		.amdhsa_shared_vgpr_count 0
		.amdhsa_exception_fp_ieee_invalid_op 0
		.amdhsa_exception_fp_denorm_src 0
		.amdhsa_exception_fp_ieee_div_zero 0
		.amdhsa_exception_fp_ieee_overflow 0
		.amdhsa_exception_fp_ieee_underflow 0
		.amdhsa_exception_fp_ieee_inexact 0
		.amdhsa_exception_int_div_zero 0
	.end_amdhsa_kernel
	.section	.text._Z24warp_load_guarded_kernelILj1024ELj4ELj64ELN6hipcub17WarpLoadAlgorithmE3EiEvPT3_S3_iS2_,"axG",@progbits,_Z24warp_load_guarded_kernelILj1024ELj4ELj64ELN6hipcub17WarpLoadAlgorithmE3EiEvPT3_S3_iS2_,comdat
.Lfunc_end16:
	.size	_Z24warp_load_guarded_kernelILj1024ELj4ELj64ELN6hipcub17WarpLoadAlgorithmE3EiEvPT3_S3_iS2_, .Lfunc_end16-_Z24warp_load_guarded_kernelILj1024ELj4ELj64ELN6hipcub17WarpLoadAlgorithmE3EiEvPT3_S3_iS2_
                                        ; -- End function
	.section	.AMDGPU.csdata,"",@progbits
; Kernel info:
; codeLenInByte = 4
; NumSgprs: 0
; NumVgprs: 0
; ScratchSize: 0
; MemoryBound: 0
; FloatMode: 240
; IeeeMode: 1
; LDSByteSize: 0 bytes/workgroup (compile time only)
; SGPRBlocks: 0
; VGPRBlocks: 0
; NumSGPRsForWavesPerEU: 1
; NumVGPRsForWavesPerEU: 1
; Occupancy: 16
; WaveLimiterHint : 0
; COMPUTE_PGM_RSRC2:SCRATCH_EN: 0
; COMPUTE_PGM_RSRC2:USER_SGPR: 15
; COMPUTE_PGM_RSRC2:TRAP_HANDLER: 0
; COMPUTE_PGM_RSRC2:TGID_X_EN: 1
; COMPUTE_PGM_RSRC2:TGID_Y_EN: 0
; COMPUTE_PGM_RSRC2:TGID_Z_EN: 0
; COMPUTE_PGM_RSRC2:TIDIG_COMP_CNT: 0
	.section	.text._Z24warp_load_guarded_kernelILj1024ELj4ELj64ELN6hipcub17WarpLoadAlgorithmE2EiEvPT3_S3_iS2_,"axG",@progbits,_Z24warp_load_guarded_kernelILj1024ELj4ELj64ELN6hipcub17WarpLoadAlgorithmE2EiEvPT3_S3_iS2_,comdat
	.protected	_Z24warp_load_guarded_kernelILj1024ELj4ELj64ELN6hipcub17WarpLoadAlgorithmE2EiEvPT3_S3_iS2_ ; -- Begin function _Z24warp_load_guarded_kernelILj1024ELj4ELj64ELN6hipcub17WarpLoadAlgorithmE2EiEvPT3_S3_iS2_
	.globl	_Z24warp_load_guarded_kernelILj1024ELj4ELj64ELN6hipcub17WarpLoadAlgorithmE2EiEvPT3_S3_iS2_
	.p2align	8
	.type	_Z24warp_load_guarded_kernelILj1024ELj4ELj64ELN6hipcub17WarpLoadAlgorithmE2EiEvPT3_S3_iS2_,@function
_Z24warp_load_guarded_kernelILj1024ELj4ELj64ELN6hipcub17WarpLoadAlgorithmE2EiEvPT3_S3_iS2_: ; @_Z24warp_load_guarded_kernelILj1024ELj4ELj64ELN6hipcub17WarpLoadAlgorithmE2EiEvPT3_S3_iS2_
; %bb.0:
	s_endpgm
	.section	.rodata,"a",@progbits
	.p2align	6, 0x0
	.amdhsa_kernel _Z24warp_load_guarded_kernelILj1024ELj4ELj64ELN6hipcub17WarpLoadAlgorithmE2EiEvPT3_S3_iS2_
		.amdhsa_group_segment_fixed_size 0
		.amdhsa_private_segment_fixed_size 0
		.amdhsa_kernarg_size 24
		.amdhsa_user_sgpr_count 15
		.amdhsa_user_sgpr_dispatch_ptr 0
		.amdhsa_user_sgpr_queue_ptr 0
		.amdhsa_user_sgpr_kernarg_segment_ptr 1
		.amdhsa_user_sgpr_dispatch_id 0
		.amdhsa_user_sgpr_private_segment_size 0
		.amdhsa_wavefront_size32 1
		.amdhsa_uses_dynamic_stack 0
		.amdhsa_enable_private_segment 0
		.amdhsa_system_sgpr_workgroup_id_x 1
		.amdhsa_system_sgpr_workgroup_id_y 0
		.amdhsa_system_sgpr_workgroup_id_z 0
		.amdhsa_system_sgpr_workgroup_info 0
		.amdhsa_system_vgpr_workitem_id 0
		.amdhsa_next_free_vgpr 1
		.amdhsa_next_free_sgpr 1
		.amdhsa_reserve_vcc 0
		.amdhsa_float_round_mode_32 0
		.amdhsa_float_round_mode_16_64 0
		.amdhsa_float_denorm_mode_32 3
		.amdhsa_float_denorm_mode_16_64 3
		.amdhsa_dx10_clamp 1
		.amdhsa_ieee_mode 1
		.amdhsa_fp16_overflow 0
		.amdhsa_workgroup_processor_mode 1
		.amdhsa_memory_ordered 1
		.amdhsa_forward_progress 0
		.amdhsa_shared_vgpr_count 0
		.amdhsa_exception_fp_ieee_invalid_op 0
		.amdhsa_exception_fp_denorm_src 0
		.amdhsa_exception_fp_ieee_div_zero 0
		.amdhsa_exception_fp_ieee_overflow 0
		.amdhsa_exception_fp_ieee_underflow 0
		.amdhsa_exception_fp_ieee_inexact 0
		.amdhsa_exception_int_div_zero 0
	.end_amdhsa_kernel
	.section	.text._Z24warp_load_guarded_kernelILj1024ELj4ELj64ELN6hipcub17WarpLoadAlgorithmE2EiEvPT3_S3_iS2_,"axG",@progbits,_Z24warp_load_guarded_kernelILj1024ELj4ELj64ELN6hipcub17WarpLoadAlgorithmE2EiEvPT3_S3_iS2_,comdat
.Lfunc_end17:
	.size	_Z24warp_load_guarded_kernelILj1024ELj4ELj64ELN6hipcub17WarpLoadAlgorithmE2EiEvPT3_S3_iS2_, .Lfunc_end17-_Z24warp_load_guarded_kernelILj1024ELj4ELj64ELN6hipcub17WarpLoadAlgorithmE2EiEvPT3_S3_iS2_
                                        ; -- End function
	.section	.AMDGPU.csdata,"",@progbits
; Kernel info:
; codeLenInByte = 4
; NumSgprs: 0
; NumVgprs: 0
; ScratchSize: 0
; MemoryBound: 0
; FloatMode: 240
; IeeeMode: 1
; LDSByteSize: 0 bytes/workgroup (compile time only)
; SGPRBlocks: 0
; VGPRBlocks: 0
; NumSGPRsForWavesPerEU: 1
; NumVGPRsForWavesPerEU: 1
; Occupancy: 16
; WaveLimiterHint : 0
; COMPUTE_PGM_RSRC2:SCRATCH_EN: 0
; COMPUTE_PGM_RSRC2:USER_SGPR: 15
; COMPUTE_PGM_RSRC2:TRAP_HANDLER: 0
; COMPUTE_PGM_RSRC2:TGID_X_EN: 1
; COMPUTE_PGM_RSRC2:TGID_Y_EN: 0
; COMPUTE_PGM_RSRC2:TGID_Z_EN: 0
; COMPUTE_PGM_RSRC2:TIDIG_COMP_CNT: 0
	.section	.text._Z24warp_load_guarded_kernelILj1024ELj4ELj64ELN6hipcub17WarpLoadAlgorithmE1EiEvPT3_S3_iS2_,"axG",@progbits,_Z24warp_load_guarded_kernelILj1024ELj4ELj64ELN6hipcub17WarpLoadAlgorithmE1EiEvPT3_S3_iS2_,comdat
	.protected	_Z24warp_load_guarded_kernelILj1024ELj4ELj64ELN6hipcub17WarpLoadAlgorithmE1EiEvPT3_S3_iS2_ ; -- Begin function _Z24warp_load_guarded_kernelILj1024ELj4ELj64ELN6hipcub17WarpLoadAlgorithmE1EiEvPT3_S3_iS2_
	.globl	_Z24warp_load_guarded_kernelILj1024ELj4ELj64ELN6hipcub17WarpLoadAlgorithmE1EiEvPT3_S3_iS2_
	.p2align	8
	.type	_Z24warp_load_guarded_kernelILj1024ELj4ELj64ELN6hipcub17WarpLoadAlgorithmE1EiEvPT3_S3_iS2_,@function
_Z24warp_load_guarded_kernelILj1024ELj4ELj64ELN6hipcub17WarpLoadAlgorithmE1EiEvPT3_S3_iS2_: ; @_Z24warp_load_guarded_kernelILj1024ELj4ELj64ELN6hipcub17WarpLoadAlgorithmE1EiEvPT3_S3_iS2_
; %bb.0:
	s_endpgm
	.section	.rodata,"a",@progbits
	.p2align	6, 0x0
	.amdhsa_kernel _Z24warp_load_guarded_kernelILj1024ELj4ELj64ELN6hipcub17WarpLoadAlgorithmE1EiEvPT3_S3_iS2_
		.amdhsa_group_segment_fixed_size 0
		.amdhsa_private_segment_fixed_size 0
		.amdhsa_kernarg_size 24
		.amdhsa_user_sgpr_count 15
		.amdhsa_user_sgpr_dispatch_ptr 0
		.amdhsa_user_sgpr_queue_ptr 0
		.amdhsa_user_sgpr_kernarg_segment_ptr 1
		.amdhsa_user_sgpr_dispatch_id 0
		.amdhsa_user_sgpr_private_segment_size 0
		.amdhsa_wavefront_size32 1
		.amdhsa_uses_dynamic_stack 0
		.amdhsa_enable_private_segment 0
		.amdhsa_system_sgpr_workgroup_id_x 1
		.amdhsa_system_sgpr_workgroup_id_y 0
		.amdhsa_system_sgpr_workgroup_id_z 0
		.amdhsa_system_sgpr_workgroup_info 0
		.amdhsa_system_vgpr_workitem_id 0
		.amdhsa_next_free_vgpr 1
		.amdhsa_next_free_sgpr 1
		.amdhsa_reserve_vcc 0
		.amdhsa_float_round_mode_32 0
		.amdhsa_float_round_mode_16_64 0
		.amdhsa_float_denorm_mode_32 3
		.amdhsa_float_denorm_mode_16_64 3
		.amdhsa_dx10_clamp 1
		.amdhsa_ieee_mode 1
		.amdhsa_fp16_overflow 0
		.amdhsa_workgroup_processor_mode 1
		.amdhsa_memory_ordered 1
		.amdhsa_forward_progress 0
		.amdhsa_shared_vgpr_count 0
		.amdhsa_exception_fp_ieee_invalid_op 0
		.amdhsa_exception_fp_denorm_src 0
		.amdhsa_exception_fp_ieee_div_zero 0
		.amdhsa_exception_fp_ieee_overflow 0
		.amdhsa_exception_fp_ieee_underflow 0
		.amdhsa_exception_fp_ieee_inexact 0
		.amdhsa_exception_int_div_zero 0
	.end_amdhsa_kernel
	.section	.text._Z24warp_load_guarded_kernelILj1024ELj4ELj64ELN6hipcub17WarpLoadAlgorithmE1EiEvPT3_S3_iS2_,"axG",@progbits,_Z24warp_load_guarded_kernelILj1024ELj4ELj64ELN6hipcub17WarpLoadAlgorithmE1EiEvPT3_S3_iS2_,comdat
.Lfunc_end18:
	.size	_Z24warp_load_guarded_kernelILj1024ELj4ELj64ELN6hipcub17WarpLoadAlgorithmE1EiEvPT3_S3_iS2_, .Lfunc_end18-_Z24warp_load_guarded_kernelILj1024ELj4ELj64ELN6hipcub17WarpLoadAlgorithmE1EiEvPT3_S3_iS2_
                                        ; -- End function
	.section	.AMDGPU.csdata,"",@progbits
; Kernel info:
; codeLenInByte = 4
; NumSgprs: 0
; NumVgprs: 0
; ScratchSize: 0
; MemoryBound: 0
; FloatMode: 240
; IeeeMode: 1
; LDSByteSize: 0 bytes/workgroup (compile time only)
; SGPRBlocks: 0
; VGPRBlocks: 0
; NumSGPRsForWavesPerEU: 1
; NumVGPRsForWavesPerEU: 1
; Occupancy: 16
; WaveLimiterHint : 0
; COMPUTE_PGM_RSRC2:SCRATCH_EN: 0
; COMPUTE_PGM_RSRC2:USER_SGPR: 15
; COMPUTE_PGM_RSRC2:TRAP_HANDLER: 0
; COMPUTE_PGM_RSRC2:TGID_X_EN: 1
; COMPUTE_PGM_RSRC2:TGID_Y_EN: 0
; COMPUTE_PGM_RSRC2:TGID_Z_EN: 0
; COMPUTE_PGM_RSRC2:TIDIG_COMP_CNT: 0
	.section	.text._Z24warp_load_guarded_kernelILj1024ELj4ELj64ELN6hipcub17WarpLoadAlgorithmE0EiEvPT3_S3_iS2_,"axG",@progbits,_Z24warp_load_guarded_kernelILj1024ELj4ELj64ELN6hipcub17WarpLoadAlgorithmE0EiEvPT3_S3_iS2_,comdat
	.protected	_Z24warp_load_guarded_kernelILj1024ELj4ELj64ELN6hipcub17WarpLoadAlgorithmE0EiEvPT3_S3_iS2_ ; -- Begin function _Z24warp_load_guarded_kernelILj1024ELj4ELj64ELN6hipcub17WarpLoadAlgorithmE0EiEvPT3_S3_iS2_
	.globl	_Z24warp_load_guarded_kernelILj1024ELj4ELj64ELN6hipcub17WarpLoadAlgorithmE0EiEvPT3_S3_iS2_
	.p2align	8
	.type	_Z24warp_load_guarded_kernelILj1024ELj4ELj64ELN6hipcub17WarpLoadAlgorithmE0EiEvPT3_S3_iS2_,@function
_Z24warp_load_guarded_kernelILj1024ELj4ELj64ELN6hipcub17WarpLoadAlgorithmE0EiEvPT3_S3_iS2_: ; @_Z24warp_load_guarded_kernelILj1024ELj4ELj64ELN6hipcub17WarpLoadAlgorithmE0EiEvPT3_S3_iS2_
; %bb.0:
	s_endpgm
	.section	.rodata,"a",@progbits
	.p2align	6, 0x0
	.amdhsa_kernel _Z24warp_load_guarded_kernelILj1024ELj4ELj64ELN6hipcub17WarpLoadAlgorithmE0EiEvPT3_S3_iS2_
		.amdhsa_group_segment_fixed_size 0
		.amdhsa_private_segment_fixed_size 0
		.amdhsa_kernarg_size 24
		.amdhsa_user_sgpr_count 15
		.amdhsa_user_sgpr_dispatch_ptr 0
		.amdhsa_user_sgpr_queue_ptr 0
		.amdhsa_user_sgpr_kernarg_segment_ptr 1
		.amdhsa_user_sgpr_dispatch_id 0
		.amdhsa_user_sgpr_private_segment_size 0
		.amdhsa_wavefront_size32 1
		.amdhsa_uses_dynamic_stack 0
		.amdhsa_enable_private_segment 0
		.amdhsa_system_sgpr_workgroup_id_x 1
		.amdhsa_system_sgpr_workgroup_id_y 0
		.amdhsa_system_sgpr_workgroup_id_z 0
		.amdhsa_system_sgpr_workgroup_info 0
		.amdhsa_system_vgpr_workitem_id 0
		.amdhsa_next_free_vgpr 1
		.amdhsa_next_free_sgpr 1
		.amdhsa_reserve_vcc 0
		.amdhsa_float_round_mode_32 0
		.amdhsa_float_round_mode_16_64 0
		.amdhsa_float_denorm_mode_32 3
		.amdhsa_float_denorm_mode_16_64 3
		.amdhsa_dx10_clamp 1
		.amdhsa_ieee_mode 1
		.amdhsa_fp16_overflow 0
		.amdhsa_workgroup_processor_mode 1
		.amdhsa_memory_ordered 1
		.amdhsa_forward_progress 0
		.amdhsa_shared_vgpr_count 0
		.amdhsa_exception_fp_ieee_invalid_op 0
		.amdhsa_exception_fp_denorm_src 0
		.amdhsa_exception_fp_ieee_div_zero 0
		.amdhsa_exception_fp_ieee_overflow 0
		.amdhsa_exception_fp_ieee_underflow 0
		.amdhsa_exception_fp_ieee_inexact 0
		.amdhsa_exception_int_div_zero 0
	.end_amdhsa_kernel
	.section	.text._Z24warp_load_guarded_kernelILj1024ELj4ELj64ELN6hipcub17WarpLoadAlgorithmE0EiEvPT3_S3_iS2_,"axG",@progbits,_Z24warp_load_guarded_kernelILj1024ELj4ELj64ELN6hipcub17WarpLoadAlgorithmE0EiEvPT3_S3_iS2_,comdat
.Lfunc_end19:
	.size	_Z24warp_load_guarded_kernelILj1024ELj4ELj64ELN6hipcub17WarpLoadAlgorithmE0EiEvPT3_S3_iS2_, .Lfunc_end19-_Z24warp_load_guarded_kernelILj1024ELj4ELj64ELN6hipcub17WarpLoadAlgorithmE0EiEvPT3_S3_iS2_
                                        ; -- End function
	.section	.AMDGPU.csdata,"",@progbits
; Kernel info:
; codeLenInByte = 4
; NumSgprs: 0
; NumVgprs: 0
; ScratchSize: 0
; MemoryBound: 0
; FloatMode: 240
; IeeeMode: 1
; LDSByteSize: 0 bytes/workgroup (compile time only)
; SGPRBlocks: 0
; VGPRBlocks: 0
; NumSGPRsForWavesPerEU: 1
; NumVGPRsForWavesPerEU: 1
; Occupancy: 16
; WaveLimiterHint : 0
; COMPUTE_PGM_RSRC2:SCRATCH_EN: 0
; COMPUTE_PGM_RSRC2:USER_SGPR: 15
; COMPUTE_PGM_RSRC2:TRAP_HANDLER: 0
; COMPUTE_PGM_RSRC2:TGID_X_EN: 1
; COMPUTE_PGM_RSRC2:TGID_Y_EN: 0
; COMPUTE_PGM_RSRC2:TGID_Z_EN: 0
; COMPUTE_PGM_RSRC2:TIDIG_COMP_CNT: 0
	.section	.text._Z24warp_load_guarded_kernelILj1024ELj4ELj32ELN6hipcub17WarpLoadAlgorithmE3EiEvPT3_S3_iS2_,"axG",@progbits,_Z24warp_load_guarded_kernelILj1024ELj4ELj32ELN6hipcub17WarpLoadAlgorithmE3EiEvPT3_S3_iS2_,comdat
	.protected	_Z24warp_load_guarded_kernelILj1024ELj4ELj32ELN6hipcub17WarpLoadAlgorithmE3EiEvPT3_S3_iS2_ ; -- Begin function _Z24warp_load_guarded_kernelILj1024ELj4ELj32ELN6hipcub17WarpLoadAlgorithmE3EiEvPT3_S3_iS2_
	.globl	_Z24warp_load_guarded_kernelILj1024ELj4ELj32ELN6hipcub17WarpLoadAlgorithmE3EiEvPT3_S3_iS2_
	.p2align	8
	.type	_Z24warp_load_guarded_kernelILj1024ELj4ELj32ELN6hipcub17WarpLoadAlgorithmE3EiEvPT3_S3_iS2_,@function
_Z24warp_load_guarded_kernelILj1024ELj4ELj32ELN6hipcub17WarpLoadAlgorithmE3EiEvPT3_S3_iS2_: ; @_Z24warp_load_guarded_kernelILj1024ELj4ELj32ELN6hipcub17WarpLoadAlgorithmE3EiEvPT3_S3_iS2_
; %bb.0:
	s_clause 0x1
	s_load_b128 s[4:7], s[0:1], 0x0
	s_load_b64 s[2:3], s[0:1], 0x10
	v_lshrrev_b32_e32 v1, 5, v0
	v_mbcnt_lo_u32_b32 v8, -1, 0
	s_waitcnt lgkmcnt(0)
	s_mov_b32 s8, s3
	s_mov_b32 s9, s3
	s_mov_b32 s10, s3
	s_mov_b32 s11, s3
	v_lshlrev_b32_e32 v7, 9, v1
	v_dual_mov_b32 v1, s8 :: v_dual_mov_b32 v10, s3
	v_dual_mov_b32 v4, s11 :: v_dual_lshlrev_b32 v9, 2, v8
	v_mov_b32_e32 v2, s9
	s_delay_alu instid0(VALU_DEP_4) | instskip(NEXT) | instid1(VALU_DEP_1)
	v_add_co_u32 v5, s0, s4, v7
	v_add_co_ci_u32_e64 v6, null, s5, 0, s0
	v_mov_b32_e32 v3, s10
	s_delay_alu instid0(VALU_DEP_3) | instskip(NEXT) | instid1(VALU_DEP_1)
	v_add_co_u32 v5, s0, v5, v9
	v_add_co_ci_u32_e64 v6, s0, 0, v6, s0
	s_mov_b32 s0, exec_lo
	v_cmpx_gt_u32_e64 s2, v8
	s_cbranch_execz .LBB20_2
; %bb.1:
	global_load_b32 v10, v[5:6], off
	v_dual_mov_b32 v1, s8 :: v_dual_mov_b32 v2, s9
	v_dual_mov_b32 v3, s10 :: v_dual_mov_b32 v4, s11
                                        ; kill: def $vgpr1 killed $vgpr10 killed $exec
.LBB20_2:
	s_or_b32 exec_lo, exec_lo, s0
	v_or_b32_e32 v1, 32, v8
	s_mov_b32 s0, exec_lo
	s_delay_alu instid0(VALU_DEP_1)
	v_cmpx_gt_u32_e64 s2, v1
	s_cbranch_execz .LBB20_4
; %bb.3:
	global_load_b32 v2, v[5:6], off offset:128
.LBB20_4:
	s_or_b32 exec_lo, exec_lo, s0
	v_or_b32_e32 v1, 64, v8
	s_mov_b32 s0, exec_lo
	s_delay_alu instid0(VALU_DEP_1)
	v_cmpx_gt_u32_e64 s2, v1
	s_cbranch_execz .LBB20_6
; %bb.5:
	global_load_b32 v3, v[5:6], off offset:256
.LBB20_6:
	;; [unrolled: 9-line block ×3, first 2 shown]
	s_or_b32 exec_lo, exec_lo, s0
	v_lshl_or_b32 v1, v8, 2, v7
	v_lshl_or_b32 v5, v9, 2, v7
	v_lshlrev_b32_e32 v0, 4, v0
	s_waitcnt vmcnt(0)
	ds_store_2addr_b32 v1, v10, v2 offset1:32
	ds_store_2addr_b32 v1, v3, v4 offset0:64 offset1:96
	; wave barrier
	ds_load_b128 v[1:4], v5
	s_waitcnt lgkmcnt(0)
	global_store_b128 v0, v[1:4], s[6:7]
	s_nop 0
	s_sendmsg sendmsg(MSG_DEALLOC_VGPRS)
	s_endpgm
	.section	.rodata,"a",@progbits
	.p2align	6, 0x0
	.amdhsa_kernel _Z24warp_load_guarded_kernelILj1024ELj4ELj32ELN6hipcub17WarpLoadAlgorithmE3EiEvPT3_S3_iS2_
		.amdhsa_group_segment_fixed_size 16384
		.amdhsa_private_segment_fixed_size 0
		.amdhsa_kernarg_size 24
		.amdhsa_user_sgpr_count 15
		.amdhsa_user_sgpr_dispatch_ptr 0
		.amdhsa_user_sgpr_queue_ptr 0
		.amdhsa_user_sgpr_kernarg_segment_ptr 1
		.amdhsa_user_sgpr_dispatch_id 0
		.amdhsa_user_sgpr_private_segment_size 0
		.amdhsa_wavefront_size32 1
		.amdhsa_uses_dynamic_stack 0
		.amdhsa_enable_private_segment 0
		.amdhsa_system_sgpr_workgroup_id_x 1
		.amdhsa_system_sgpr_workgroup_id_y 0
		.amdhsa_system_sgpr_workgroup_id_z 0
		.amdhsa_system_sgpr_workgroup_info 0
		.amdhsa_system_vgpr_workitem_id 0
		.amdhsa_next_free_vgpr 11
		.amdhsa_next_free_sgpr 12
		.amdhsa_reserve_vcc 0
		.amdhsa_float_round_mode_32 0
		.amdhsa_float_round_mode_16_64 0
		.amdhsa_float_denorm_mode_32 3
		.amdhsa_float_denorm_mode_16_64 3
		.amdhsa_dx10_clamp 1
		.amdhsa_ieee_mode 1
		.amdhsa_fp16_overflow 0
		.amdhsa_workgroup_processor_mode 1
		.amdhsa_memory_ordered 1
		.amdhsa_forward_progress 0
		.amdhsa_shared_vgpr_count 0
		.amdhsa_exception_fp_ieee_invalid_op 0
		.amdhsa_exception_fp_denorm_src 0
		.amdhsa_exception_fp_ieee_div_zero 0
		.amdhsa_exception_fp_ieee_overflow 0
		.amdhsa_exception_fp_ieee_underflow 0
		.amdhsa_exception_fp_ieee_inexact 0
		.amdhsa_exception_int_div_zero 0
	.end_amdhsa_kernel
	.section	.text._Z24warp_load_guarded_kernelILj1024ELj4ELj32ELN6hipcub17WarpLoadAlgorithmE3EiEvPT3_S3_iS2_,"axG",@progbits,_Z24warp_load_guarded_kernelILj1024ELj4ELj32ELN6hipcub17WarpLoadAlgorithmE3EiEvPT3_S3_iS2_,comdat
.Lfunc_end20:
	.size	_Z24warp_load_guarded_kernelILj1024ELj4ELj32ELN6hipcub17WarpLoadAlgorithmE3EiEvPT3_S3_iS2_, .Lfunc_end20-_Z24warp_load_guarded_kernelILj1024ELj4ELj32ELN6hipcub17WarpLoadAlgorithmE3EiEvPT3_S3_iS2_
                                        ; -- End function
	.section	.AMDGPU.csdata,"",@progbits
; Kernel info:
; codeLenInByte = 348
; NumSgprs: 12
; NumVgprs: 11
; ScratchSize: 0
; MemoryBound: 0
; FloatMode: 240
; IeeeMode: 1
; LDSByteSize: 16384 bytes/workgroup (compile time only)
; SGPRBlocks: 1
; VGPRBlocks: 1
; NumSGPRsForWavesPerEU: 12
; NumVGPRsForWavesPerEU: 11
; Occupancy: 16
; WaveLimiterHint : 0
; COMPUTE_PGM_RSRC2:SCRATCH_EN: 0
; COMPUTE_PGM_RSRC2:USER_SGPR: 15
; COMPUTE_PGM_RSRC2:TRAP_HANDLER: 0
; COMPUTE_PGM_RSRC2:TGID_X_EN: 1
; COMPUTE_PGM_RSRC2:TGID_Y_EN: 0
; COMPUTE_PGM_RSRC2:TGID_Z_EN: 0
; COMPUTE_PGM_RSRC2:TIDIG_COMP_CNT: 0
	.section	.text._Z24warp_load_guarded_kernelILj1024ELj4ELj32ELN6hipcub17WarpLoadAlgorithmE2EiEvPT3_S3_iS2_,"axG",@progbits,_Z24warp_load_guarded_kernelILj1024ELj4ELj32ELN6hipcub17WarpLoadAlgorithmE2EiEvPT3_S3_iS2_,comdat
	.protected	_Z24warp_load_guarded_kernelILj1024ELj4ELj32ELN6hipcub17WarpLoadAlgorithmE2EiEvPT3_S3_iS2_ ; -- Begin function _Z24warp_load_guarded_kernelILj1024ELj4ELj32ELN6hipcub17WarpLoadAlgorithmE2EiEvPT3_S3_iS2_
	.globl	_Z24warp_load_guarded_kernelILj1024ELj4ELj32ELN6hipcub17WarpLoadAlgorithmE2EiEvPT3_S3_iS2_
	.p2align	8
	.type	_Z24warp_load_guarded_kernelILj1024ELj4ELj32ELN6hipcub17WarpLoadAlgorithmE2EiEvPT3_S3_iS2_,@function
_Z24warp_load_guarded_kernelILj1024ELj4ELj32ELN6hipcub17WarpLoadAlgorithmE2EiEvPT3_S3_iS2_: ; @_Z24warp_load_guarded_kernelILj1024ELj4ELj32ELN6hipcub17WarpLoadAlgorithmE2EiEvPT3_S3_iS2_
; %bb.0:
	s_clause 0x1
	s_load_b128 s[4:7], s[0:1], 0x0
	s_load_b64 s[2:3], s[0:1], 0x10
	v_mbcnt_lo_u32_b32 v2, -1, 0
	s_delay_alu instid0(VALU_DEP_1)
	v_lshlrev_b32_e32 v7, 2, v2
	s_waitcnt lgkmcnt(0)
	s_mov_b32 s8, s3
	s_mov_b32 s9, s3
	;; [unrolled: 1-line block ×4, first 2 shown]
	v_lshlrev_b32_e32 v1, 4, v0
	v_lshlrev_b32_e32 v2, 4, v2
	s_delay_alu instid0(VALU_DEP_2) | instskip(NEXT) | instid1(VALU_DEP_1)
	v_and_b32_e32 v1, 0x3e00, v1
	v_add_co_u32 v1, s0, s4, v1
	s_delay_alu instid0(VALU_DEP_1) | instskip(NEXT) | instid1(VALU_DEP_2)
	v_add_co_ci_u32_e64 v3, null, s5, 0, s0
	v_add_co_u32 v5, s0, v1, v2
	s_delay_alu instid0(VALU_DEP_1)
	v_add_co_ci_u32_e64 v6, s0, 0, v3, s0
	v_dual_mov_b32 v1, s8 :: v_dual_mov_b32 v4, s11
	v_dual_mov_b32 v2, s9 :: v_dual_mov_b32 v3, s10
	s_mov_b32 s0, exec_lo
	v_cmpx_gt_u32_e64 s2, v7
	s_cbranch_execz .LBB21_2
; %bb.1:
	global_load_b32 v8, v[5:6], off
	v_dual_mov_b32 v1, s8 :: v_dual_mov_b32 v2, s9
	v_dual_mov_b32 v3, s10 :: v_dual_mov_b32 v4, s11
	s_waitcnt vmcnt(0)
	v_mov_b32_e32 v1, v8
.LBB21_2:
	s_or_b32 exec_lo, exec_lo, s0
	v_or_b32_e32 v8, 1, v7
	s_mov_b32 s0, exec_lo
	s_delay_alu instid0(VALU_DEP_1)
	v_cmpx_gt_u32_e64 s2, v8
	s_cbranch_execz .LBB21_4
; %bb.3:
	global_load_b32 v2, v[5:6], off offset:4
.LBB21_4:
	s_or_b32 exec_lo, exec_lo, s0
	v_or_b32_e32 v8, 2, v7
	s_mov_b32 s0, exec_lo
	s_delay_alu instid0(VALU_DEP_1)
	v_cmpx_gt_u32_e64 s2, v8
	s_cbranch_execz .LBB21_6
; %bb.5:
	global_load_b32 v3, v[5:6], off offset:8
.LBB21_6:
	s_or_b32 exec_lo, exec_lo, s0
	v_or_b32_e32 v7, 3, v7
	v_lshlrev_b32_e32 v0, 2, v0
	s_mov_b32 s0, exec_lo
	s_delay_alu instid0(VALU_DEP_2)
	v_cmpx_gt_u32_e64 s2, v7
	s_cbranch_execz .LBB21_8
; %bb.7:
	global_load_b32 v4, v[5:6], off offset:12
.LBB21_8:
	s_or_b32 exec_lo, exec_lo, s0
	v_lshlrev_b32_e32 v0, 2, v0
	s_waitcnt vmcnt(0)
	global_store_b128 v0, v[1:4], s[6:7]
	s_nop 0
	s_sendmsg sendmsg(MSG_DEALLOC_VGPRS)
	s_endpgm
	.section	.rodata,"a",@progbits
	.p2align	6, 0x0
	.amdhsa_kernel _Z24warp_load_guarded_kernelILj1024ELj4ELj32ELN6hipcub17WarpLoadAlgorithmE2EiEvPT3_S3_iS2_
		.amdhsa_group_segment_fixed_size 0
		.amdhsa_private_segment_fixed_size 0
		.amdhsa_kernarg_size 24
		.amdhsa_user_sgpr_count 15
		.amdhsa_user_sgpr_dispatch_ptr 0
		.amdhsa_user_sgpr_queue_ptr 0
		.amdhsa_user_sgpr_kernarg_segment_ptr 1
		.amdhsa_user_sgpr_dispatch_id 0
		.amdhsa_user_sgpr_private_segment_size 0
		.amdhsa_wavefront_size32 1
		.amdhsa_uses_dynamic_stack 0
		.amdhsa_enable_private_segment 0
		.amdhsa_system_sgpr_workgroup_id_x 1
		.amdhsa_system_sgpr_workgroup_id_y 0
		.amdhsa_system_sgpr_workgroup_id_z 0
		.amdhsa_system_sgpr_workgroup_info 0
		.amdhsa_system_vgpr_workitem_id 0
		.amdhsa_next_free_vgpr 9
		.amdhsa_next_free_sgpr 12
		.amdhsa_reserve_vcc 0
		.amdhsa_float_round_mode_32 0
		.amdhsa_float_round_mode_16_64 0
		.amdhsa_float_denorm_mode_32 3
		.amdhsa_float_denorm_mode_16_64 3
		.amdhsa_dx10_clamp 1
		.amdhsa_ieee_mode 1
		.amdhsa_fp16_overflow 0
		.amdhsa_workgroup_processor_mode 1
		.amdhsa_memory_ordered 1
		.amdhsa_forward_progress 0
		.amdhsa_shared_vgpr_count 0
		.amdhsa_exception_fp_ieee_invalid_op 0
		.amdhsa_exception_fp_denorm_src 0
		.amdhsa_exception_fp_ieee_div_zero 0
		.amdhsa_exception_fp_ieee_overflow 0
		.amdhsa_exception_fp_ieee_underflow 0
		.amdhsa_exception_fp_ieee_inexact 0
		.amdhsa_exception_int_div_zero 0
	.end_amdhsa_kernel
	.section	.text._Z24warp_load_guarded_kernelILj1024ELj4ELj32ELN6hipcub17WarpLoadAlgorithmE2EiEvPT3_S3_iS2_,"axG",@progbits,_Z24warp_load_guarded_kernelILj1024ELj4ELj32ELN6hipcub17WarpLoadAlgorithmE2EiEvPT3_S3_iS2_,comdat
.Lfunc_end21:
	.size	_Z24warp_load_guarded_kernelILj1024ELj4ELj32ELN6hipcub17WarpLoadAlgorithmE2EiEvPT3_S3_iS2_, .Lfunc_end21-_Z24warp_load_guarded_kernelILj1024ELj4ELj32ELN6hipcub17WarpLoadAlgorithmE2EiEvPT3_S3_iS2_
                                        ; -- End function
	.section	.AMDGPU.csdata,"",@progbits
; Kernel info:
; codeLenInByte = 324
; NumSgprs: 12
; NumVgprs: 9
; ScratchSize: 0
; MemoryBound: 0
; FloatMode: 240
; IeeeMode: 1
; LDSByteSize: 0 bytes/workgroup (compile time only)
; SGPRBlocks: 1
; VGPRBlocks: 1
; NumSGPRsForWavesPerEU: 12
; NumVGPRsForWavesPerEU: 9
; Occupancy: 16
; WaveLimiterHint : 0
; COMPUTE_PGM_RSRC2:SCRATCH_EN: 0
; COMPUTE_PGM_RSRC2:USER_SGPR: 15
; COMPUTE_PGM_RSRC2:TRAP_HANDLER: 0
; COMPUTE_PGM_RSRC2:TGID_X_EN: 1
; COMPUTE_PGM_RSRC2:TGID_Y_EN: 0
; COMPUTE_PGM_RSRC2:TGID_Z_EN: 0
; COMPUTE_PGM_RSRC2:TIDIG_COMP_CNT: 0
	.section	.text._Z24warp_load_guarded_kernelILj1024ELj4ELj32ELN6hipcub17WarpLoadAlgorithmE1EiEvPT3_S3_iS2_,"axG",@progbits,_Z24warp_load_guarded_kernelILj1024ELj4ELj32ELN6hipcub17WarpLoadAlgorithmE1EiEvPT3_S3_iS2_,comdat
	.protected	_Z24warp_load_guarded_kernelILj1024ELj4ELj32ELN6hipcub17WarpLoadAlgorithmE1EiEvPT3_S3_iS2_ ; -- Begin function _Z24warp_load_guarded_kernelILj1024ELj4ELj32ELN6hipcub17WarpLoadAlgorithmE1EiEvPT3_S3_iS2_
	.globl	_Z24warp_load_guarded_kernelILj1024ELj4ELj32ELN6hipcub17WarpLoadAlgorithmE1EiEvPT3_S3_iS2_
	.p2align	8
	.type	_Z24warp_load_guarded_kernelILj1024ELj4ELj32ELN6hipcub17WarpLoadAlgorithmE1EiEvPT3_S3_iS2_,@function
_Z24warp_load_guarded_kernelILj1024ELj4ELj32ELN6hipcub17WarpLoadAlgorithmE1EiEvPT3_S3_iS2_: ; @_Z24warp_load_guarded_kernelILj1024ELj4ELj32ELN6hipcub17WarpLoadAlgorithmE1EiEvPT3_S3_iS2_
; %bb.0:
	s_clause 0x1
	s_load_b128 s[4:7], s[0:1], 0x0
	s_load_b64 s[2:3], s[0:1], 0x10
	v_mbcnt_lo_u32_b32 v7, -1, 0
	s_waitcnt lgkmcnt(0)
	s_mov_b32 s8, s3
	s_mov_b32 s9, s3
	;; [unrolled: 1-line block ×4, first 2 shown]
	v_lshlrev_b32_e32 v1, 4, v0
	v_lshlrev_b32_e32 v2, 2, v7
	s_delay_alu instid0(VALU_DEP_2) | instskip(NEXT) | instid1(VALU_DEP_1)
	v_and_b32_e32 v1, 0x3e00, v1
	v_add_co_u32 v1, s0, s4, v1
	s_delay_alu instid0(VALU_DEP_1) | instskip(NEXT) | instid1(VALU_DEP_2)
	v_add_co_ci_u32_e64 v3, null, s5, 0, s0
	v_add_co_u32 v5, s0, v1, v2
	s_delay_alu instid0(VALU_DEP_1)
	v_add_co_ci_u32_e64 v6, s0, 0, v3, s0
	v_dual_mov_b32 v1, s8 :: v_dual_mov_b32 v4, s11
	v_dual_mov_b32 v2, s9 :: v_dual_mov_b32 v3, s10
	s_mov_b32 s0, exec_lo
	v_cmpx_gt_u32_e64 s2, v7
	s_cbranch_execz .LBB22_2
; %bb.1:
	global_load_b32 v8, v[5:6], off
	v_dual_mov_b32 v1, s8 :: v_dual_mov_b32 v2, s9
	v_dual_mov_b32 v3, s10 :: v_dual_mov_b32 v4, s11
	s_waitcnt vmcnt(0)
	v_mov_b32_e32 v1, v8
.LBB22_2:
	s_or_b32 exec_lo, exec_lo, s0
	v_or_b32_e32 v8, 32, v7
	s_mov_b32 s0, exec_lo
	s_delay_alu instid0(VALU_DEP_1)
	v_cmpx_gt_u32_e64 s2, v8
	s_cbranch_execz .LBB22_4
; %bb.3:
	global_load_b32 v2, v[5:6], off offset:128
.LBB22_4:
	s_or_b32 exec_lo, exec_lo, s0
	v_or_b32_e32 v8, 64, v7
	s_mov_b32 s0, exec_lo
	s_delay_alu instid0(VALU_DEP_1)
	v_cmpx_gt_u32_e64 s2, v8
	s_cbranch_execz .LBB22_6
; %bb.5:
	global_load_b32 v3, v[5:6], off offset:256
.LBB22_6:
	s_or_b32 exec_lo, exec_lo, s0
	v_or_b32_e32 v7, 0x60, v7
	v_lshlrev_b32_e32 v0, 2, v0
	s_mov_b32 s0, exec_lo
	s_delay_alu instid0(VALU_DEP_2)
	v_cmpx_gt_u32_e64 s2, v7
	s_cbranch_execz .LBB22_8
; %bb.7:
	global_load_b32 v4, v[5:6], off offset:384
.LBB22_8:
	s_or_b32 exec_lo, exec_lo, s0
	v_lshlrev_b32_e32 v0, 2, v0
	s_waitcnt vmcnt(0)
	global_store_b128 v0, v[1:4], s[6:7]
	s_nop 0
	s_sendmsg sendmsg(MSG_DEALLOC_VGPRS)
	s_endpgm
	.section	.rodata,"a",@progbits
	.p2align	6, 0x0
	.amdhsa_kernel _Z24warp_load_guarded_kernelILj1024ELj4ELj32ELN6hipcub17WarpLoadAlgorithmE1EiEvPT3_S3_iS2_
		.amdhsa_group_segment_fixed_size 0
		.amdhsa_private_segment_fixed_size 0
		.amdhsa_kernarg_size 24
		.amdhsa_user_sgpr_count 15
		.amdhsa_user_sgpr_dispatch_ptr 0
		.amdhsa_user_sgpr_queue_ptr 0
		.amdhsa_user_sgpr_kernarg_segment_ptr 1
		.amdhsa_user_sgpr_dispatch_id 0
		.amdhsa_user_sgpr_private_segment_size 0
		.amdhsa_wavefront_size32 1
		.amdhsa_uses_dynamic_stack 0
		.amdhsa_enable_private_segment 0
		.amdhsa_system_sgpr_workgroup_id_x 1
		.amdhsa_system_sgpr_workgroup_id_y 0
		.amdhsa_system_sgpr_workgroup_id_z 0
		.amdhsa_system_sgpr_workgroup_info 0
		.amdhsa_system_vgpr_workitem_id 0
		.amdhsa_next_free_vgpr 9
		.amdhsa_next_free_sgpr 12
		.amdhsa_reserve_vcc 0
		.amdhsa_float_round_mode_32 0
		.amdhsa_float_round_mode_16_64 0
		.amdhsa_float_denorm_mode_32 3
		.amdhsa_float_denorm_mode_16_64 3
		.amdhsa_dx10_clamp 1
		.amdhsa_ieee_mode 1
		.amdhsa_fp16_overflow 0
		.amdhsa_workgroup_processor_mode 1
		.amdhsa_memory_ordered 1
		.amdhsa_forward_progress 0
		.amdhsa_shared_vgpr_count 0
		.amdhsa_exception_fp_ieee_invalid_op 0
		.amdhsa_exception_fp_denorm_src 0
		.amdhsa_exception_fp_ieee_div_zero 0
		.amdhsa_exception_fp_ieee_overflow 0
		.amdhsa_exception_fp_ieee_underflow 0
		.amdhsa_exception_fp_ieee_inexact 0
		.amdhsa_exception_int_div_zero 0
	.end_amdhsa_kernel
	.section	.text._Z24warp_load_guarded_kernelILj1024ELj4ELj32ELN6hipcub17WarpLoadAlgorithmE1EiEvPT3_S3_iS2_,"axG",@progbits,_Z24warp_load_guarded_kernelILj1024ELj4ELj32ELN6hipcub17WarpLoadAlgorithmE1EiEvPT3_S3_iS2_,comdat
.Lfunc_end22:
	.size	_Z24warp_load_guarded_kernelILj1024ELj4ELj32ELN6hipcub17WarpLoadAlgorithmE1EiEvPT3_S3_iS2_, .Lfunc_end22-_Z24warp_load_guarded_kernelILj1024ELj4ELj32ELN6hipcub17WarpLoadAlgorithmE1EiEvPT3_S3_iS2_
                                        ; -- End function
	.section	.AMDGPU.csdata,"",@progbits
; Kernel info:
; codeLenInByte = 320
; NumSgprs: 12
; NumVgprs: 9
; ScratchSize: 0
; MemoryBound: 0
; FloatMode: 240
; IeeeMode: 1
; LDSByteSize: 0 bytes/workgroup (compile time only)
; SGPRBlocks: 1
; VGPRBlocks: 1
; NumSGPRsForWavesPerEU: 12
; NumVGPRsForWavesPerEU: 9
; Occupancy: 16
; WaveLimiterHint : 0
; COMPUTE_PGM_RSRC2:SCRATCH_EN: 0
; COMPUTE_PGM_RSRC2:USER_SGPR: 15
; COMPUTE_PGM_RSRC2:TRAP_HANDLER: 0
; COMPUTE_PGM_RSRC2:TGID_X_EN: 1
; COMPUTE_PGM_RSRC2:TGID_Y_EN: 0
; COMPUTE_PGM_RSRC2:TGID_Z_EN: 0
; COMPUTE_PGM_RSRC2:TIDIG_COMP_CNT: 0
	.section	.text._Z24warp_load_guarded_kernelILj1024ELj4ELj32ELN6hipcub17WarpLoadAlgorithmE0EiEvPT3_S3_iS2_,"axG",@progbits,_Z24warp_load_guarded_kernelILj1024ELj4ELj32ELN6hipcub17WarpLoadAlgorithmE0EiEvPT3_S3_iS2_,comdat
	.protected	_Z24warp_load_guarded_kernelILj1024ELj4ELj32ELN6hipcub17WarpLoadAlgorithmE0EiEvPT3_S3_iS2_ ; -- Begin function _Z24warp_load_guarded_kernelILj1024ELj4ELj32ELN6hipcub17WarpLoadAlgorithmE0EiEvPT3_S3_iS2_
	.globl	_Z24warp_load_guarded_kernelILj1024ELj4ELj32ELN6hipcub17WarpLoadAlgorithmE0EiEvPT3_S3_iS2_
	.p2align	8
	.type	_Z24warp_load_guarded_kernelILj1024ELj4ELj32ELN6hipcub17WarpLoadAlgorithmE0EiEvPT3_S3_iS2_,@function
_Z24warp_load_guarded_kernelILj1024ELj4ELj32ELN6hipcub17WarpLoadAlgorithmE0EiEvPT3_S3_iS2_: ; @_Z24warp_load_guarded_kernelILj1024ELj4ELj32ELN6hipcub17WarpLoadAlgorithmE0EiEvPT3_S3_iS2_
; %bb.0:
	s_clause 0x1
	s_load_b128 s[4:7], s[0:1], 0x0
	s_load_b64 s[2:3], s[0:1], 0x10
	v_mbcnt_lo_u32_b32 v2, -1, 0
	s_delay_alu instid0(VALU_DEP_1)
	v_lshlrev_b32_e32 v7, 2, v2
	s_waitcnt lgkmcnt(0)
	s_mov_b32 s8, s3
	s_mov_b32 s9, s3
	s_mov_b32 s10, s3
	s_mov_b32 s11, s3
	v_lshlrev_b32_e32 v1, 4, v0
	v_lshlrev_b32_e32 v2, 4, v2
	s_delay_alu instid0(VALU_DEP_2) | instskip(NEXT) | instid1(VALU_DEP_1)
	v_and_b32_e32 v1, 0x3e00, v1
	v_add_co_u32 v1, s0, s4, v1
	s_delay_alu instid0(VALU_DEP_1) | instskip(NEXT) | instid1(VALU_DEP_2)
	v_add_co_ci_u32_e64 v3, null, s5, 0, s0
	v_add_co_u32 v5, s0, v1, v2
	s_delay_alu instid0(VALU_DEP_1)
	v_add_co_ci_u32_e64 v6, s0, 0, v3, s0
	v_dual_mov_b32 v1, s8 :: v_dual_mov_b32 v4, s11
	v_dual_mov_b32 v2, s9 :: v_dual_mov_b32 v3, s10
	s_mov_b32 s0, exec_lo
	v_cmpx_gt_u32_e64 s2, v7
	s_cbranch_execz .LBB23_2
; %bb.1:
	global_load_b32 v8, v[5:6], off
	v_dual_mov_b32 v1, s8 :: v_dual_mov_b32 v2, s9
	v_dual_mov_b32 v3, s10 :: v_dual_mov_b32 v4, s11
	s_waitcnt vmcnt(0)
	v_mov_b32_e32 v1, v8
.LBB23_2:
	s_or_b32 exec_lo, exec_lo, s0
	v_or_b32_e32 v8, 1, v7
	s_mov_b32 s0, exec_lo
	s_delay_alu instid0(VALU_DEP_1)
	v_cmpx_gt_u32_e64 s2, v8
	s_cbranch_execz .LBB23_4
; %bb.3:
	global_load_b32 v2, v[5:6], off offset:4
.LBB23_4:
	s_or_b32 exec_lo, exec_lo, s0
	v_or_b32_e32 v8, 2, v7
	s_mov_b32 s0, exec_lo
	s_delay_alu instid0(VALU_DEP_1)
	v_cmpx_gt_u32_e64 s2, v8
	s_cbranch_execz .LBB23_6
; %bb.5:
	global_load_b32 v3, v[5:6], off offset:8
.LBB23_6:
	s_or_b32 exec_lo, exec_lo, s0
	v_or_b32_e32 v7, 3, v7
	v_lshlrev_b32_e32 v0, 2, v0
	s_mov_b32 s0, exec_lo
	s_delay_alu instid0(VALU_DEP_2)
	v_cmpx_gt_u32_e64 s2, v7
	s_cbranch_execz .LBB23_8
; %bb.7:
	global_load_b32 v4, v[5:6], off offset:12
.LBB23_8:
	s_or_b32 exec_lo, exec_lo, s0
	v_lshlrev_b32_e32 v0, 2, v0
	s_waitcnt vmcnt(0)
	global_store_b128 v0, v[1:4], s[6:7]
	s_nop 0
	s_sendmsg sendmsg(MSG_DEALLOC_VGPRS)
	s_endpgm
	.section	.rodata,"a",@progbits
	.p2align	6, 0x0
	.amdhsa_kernel _Z24warp_load_guarded_kernelILj1024ELj4ELj32ELN6hipcub17WarpLoadAlgorithmE0EiEvPT3_S3_iS2_
		.amdhsa_group_segment_fixed_size 0
		.amdhsa_private_segment_fixed_size 0
		.amdhsa_kernarg_size 24
		.amdhsa_user_sgpr_count 15
		.amdhsa_user_sgpr_dispatch_ptr 0
		.amdhsa_user_sgpr_queue_ptr 0
		.amdhsa_user_sgpr_kernarg_segment_ptr 1
		.amdhsa_user_sgpr_dispatch_id 0
		.amdhsa_user_sgpr_private_segment_size 0
		.amdhsa_wavefront_size32 1
		.amdhsa_uses_dynamic_stack 0
		.amdhsa_enable_private_segment 0
		.amdhsa_system_sgpr_workgroup_id_x 1
		.amdhsa_system_sgpr_workgroup_id_y 0
		.amdhsa_system_sgpr_workgroup_id_z 0
		.amdhsa_system_sgpr_workgroup_info 0
		.amdhsa_system_vgpr_workitem_id 0
		.amdhsa_next_free_vgpr 9
		.amdhsa_next_free_sgpr 12
		.amdhsa_reserve_vcc 0
		.amdhsa_float_round_mode_32 0
		.amdhsa_float_round_mode_16_64 0
		.amdhsa_float_denorm_mode_32 3
		.amdhsa_float_denorm_mode_16_64 3
		.amdhsa_dx10_clamp 1
		.amdhsa_ieee_mode 1
		.amdhsa_fp16_overflow 0
		.amdhsa_workgroup_processor_mode 1
		.amdhsa_memory_ordered 1
		.amdhsa_forward_progress 0
		.amdhsa_shared_vgpr_count 0
		.amdhsa_exception_fp_ieee_invalid_op 0
		.amdhsa_exception_fp_denorm_src 0
		.amdhsa_exception_fp_ieee_div_zero 0
		.amdhsa_exception_fp_ieee_overflow 0
		.amdhsa_exception_fp_ieee_underflow 0
		.amdhsa_exception_fp_ieee_inexact 0
		.amdhsa_exception_int_div_zero 0
	.end_amdhsa_kernel
	.section	.text._Z24warp_load_guarded_kernelILj1024ELj4ELj32ELN6hipcub17WarpLoadAlgorithmE0EiEvPT3_S3_iS2_,"axG",@progbits,_Z24warp_load_guarded_kernelILj1024ELj4ELj32ELN6hipcub17WarpLoadAlgorithmE0EiEvPT3_S3_iS2_,comdat
.Lfunc_end23:
	.size	_Z24warp_load_guarded_kernelILj1024ELj4ELj32ELN6hipcub17WarpLoadAlgorithmE0EiEvPT3_S3_iS2_, .Lfunc_end23-_Z24warp_load_guarded_kernelILj1024ELj4ELj32ELN6hipcub17WarpLoadAlgorithmE0EiEvPT3_S3_iS2_
                                        ; -- End function
	.section	.AMDGPU.csdata,"",@progbits
; Kernel info:
; codeLenInByte = 324
; NumSgprs: 12
; NumVgprs: 9
; ScratchSize: 0
; MemoryBound: 0
; FloatMode: 240
; IeeeMode: 1
; LDSByteSize: 0 bytes/workgroup (compile time only)
; SGPRBlocks: 1
; VGPRBlocks: 1
; NumSGPRsForWavesPerEU: 12
; NumVGPRsForWavesPerEU: 9
; Occupancy: 16
; WaveLimiterHint : 0
; COMPUTE_PGM_RSRC2:SCRATCH_EN: 0
; COMPUTE_PGM_RSRC2:USER_SGPR: 15
; COMPUTE_PGM_RSRC2:TRAP_HANDLER: 0
; COMPUTE_PGM_RSRC2:TGID_X_EN: 1
; COMPUTE_PGM_RSRC2:TGID_Y_EN: 0
; COMPUTE_PGM_RSRC2:TGID_Z_EN: 0
; COMPUTE_PGM_RSRC2:TIDIG_COMP_CNT: 0
	.section	.text._Z24warp_load_guarded_kernelILj1024ELj4ELj16ELN6hipcub17WarpLoadAlgorithmE3EiEvPT3_S3_iS2_,"axG",@progbits,_Z24warp_load_guarded_kernelILj1024ELj4ELj16ELN6hipcub17WarpLoadAlgorithmE3EiEvPT3_S3_iS2_,comdat
	.protected	_Z24warp_load_guarded_kernelILj1024ELj4ELj16ELN6hipcub17WarpLoadAlgorithmE3EiEvPT3_S3_iS2_ ; -- Begin function _Z24warp_load_guarded_kernelILj1024ELj4ELj16ELN6hipcub17WarpLoadAlgorithmE3EiEvPT3_S3_iS2_
	.globl	_Z24warp_load_guarded_kernelILj1024ELj4ELj16ELN6hipcub17WarpLoadAlgorithmE3EiEvPT3_S3_iS2_
	.p2align	8
	.type	_Z24warp_load_guarded_kernelILj1024ELj4ELj16ELN6hipcub17WarpLoadAlgorithmE3EiEvPT3_S3_iS2_,@function
_Z24warp_load_guarded_kernelILj1024ELj4ELj16ELN6hipcub17WarpLoadAlgorithmE3EiEvPT3_S3_iS2_: ; @_Z24warp_load_guarded_kernelILj1024ELj4ELj16ELN6hipcub17WarpLoadAlgorithmE3EiEvPT3_S3_iS2_
; %bb.0:
	s_clause 0x1
	s_load_b128 s[4:7], s[0:1], 0x0
	s_load_b64 s[2:3], s[0:1], 0x10
	v_mbcnt_lo_u32_b32 v1, -1, 0
	v_lshrrev_b32_e32 v8, 4, v0
	s_waitcnt lgkmcnt(0)
	s_mov_b32 s8, s3
	s_mov_b32 s9, s3
	;; [unrolled: 1-line block ×4, first 2 shown]
	v_and_b32_e32 v7, 15, v1
	v_dual_mov_b32 v10, s3 :: v_dual_lshlrev_b32 v1, 8, v8
	s_delay_alu instid0(VALU_DEP_1) | instskip(SKIP_1) | instid1(VALU_DEP_4)
	v_add_co_u32 v5, s0, s4, v1
	v_dual_mov_b32 v1, s8 :: v_dual_mov_b32 v4, s11
	v_dual_mov_b32 v2, s9 :: v_dual_lshlrev_b32 v9, 2, v7
	v_add_co_ci_u32_e64 v6, null, s5, 0, s0
	v_mov_b32_e32 v3, s10
	s_delay_alu instid0(VALU_DEP_3) | instskip(NEXT) | instid1(VALU_DEP_1)
	v_add_co_u32 v5, s0, v5, v9
	v_add_co_ci_u32_e64 v6, s0, 0, v6, s0
	s_mov_b32 s0, exec_lo
	v_cmpx_gt_u32_e64 s2, v7
	s_cbranch_execz .LBB24_2
; %bb.1:
	global_load_b32 v10, v[5:6], off
	v_dual_mov_b32 v1, s8 :: v_dual_mov_b32 v2, s9
	v_dual_mov_b32 v3, s10 :: v_dual_mov_b32 v4, s11
                                        ; kill: def $vgpr1 killed $vgpr10 killed $exec
.LBB24_2:
	s_or_b32 exec_lo, exec_lo, s0
	v_or_b32_e32 v1, 16, v7
	s_mov_b32 s0, exec_lo
	s_delay_alu instid0(VALU_DEP_1)
	v_cmpx_gt_u32_e64 s2, v1
	s_cbranch_execz .LBB24_4
; %bb.3:
	global_load_b32 v2, v[5:6], off offset:64
.LBB24_4:
	s_or_b32 exec_lo, exec_lo, s0
	v_or_b32_e32 v1, 32, v7
	s_mov_b32 s0, exec_lo
	s_delay_alu instid0(VALU_DEP_1)
	v_cmpx_gt_u32_e64 s2, v1
	s_cbranch_execz .LBB24_6
; %bb.5:
	global_load_b32 v3, v[5:6], off offset:128
.LBB24_6:
	;; [unrolled: 9-line block ×3, first 2 shown]
	s_or_b32 exec_lo, exec_lo, s0
	v_lshl_or_b32 v1, v8, 8, v9
	v_lshlrev_b32_e32 v0, 4, v0
	s_waitcnt vmcnt(0)
	ds_store_2addr_b32 v1, v10, v2 offset1:16
	ds_store_2addr_b32 v1, v3, v4 offset0:32 offset1:48
	v_mad_u32_u24 v5, v7, 12, v1
	; wave barrier
	ds_load_b128 v[1:4], v5
	s_waitcnt lgkmcnt(0)
	global_store_b128 v0, v[1:4], s[6:7]
	s_nop 0
	s_sendmsg sendmsg(MSG_DEALLOC_VGPRS)
	s_endpgm
	.section	.rodata,"a",@progbits
	.p2align	6, 0x0
	.amdhsa_kernel _Z24warp_load_guarded_kernelILj1024ELj4ELj16ELN6hipcub17WarpLoadAlgorithmE3EiEvPT3_S3_iS2_
		.amdhsa_group_segment_fixed_size 16384
		.amdhsa_private_segment_fixed_size 0
		.amdhsa_kernarg_size 24
		.amdhsa_user_sgpr_count 15
		.amdhsa_user_sgpr_dispatch_ptr 0
		.amdhsa_user_sgpr_queue_ptr 0
		.amdhsa_user_sgpr_kernarg_segment_ptr 1
		.amdhsa_user_sgpr_dispatch_id 0
		.amdhsa_user_sgpr_private_segment_size 0
		.amdhsa_wavefront_size32 1
		.amdhsa_uses_dynamic_stack 0
		.amdhsa_enable_private_segment 0
		.amdhsa_system_sgpr_workgroup_id_x 1
		.amdhsa_system_sgpr_workgroup_id_y 0
		.amdhsa_system_sgpr_workgroup_id_z 0
		.amdhsa_system_sgpr_workgroup_info 0
		.amdhsa_system_vgpr_workitem_id 0
		.amdhsa_next_free_vgpr 11
		.amdhsa_next_free_sgpr 12
		.amdhsa_reserve_vcc 0
		.amdhsa_float_round_mode_32 0
		.amdhsa_float_round_mode_16_64 0
		.amdhsa_float_denorm_mode_32 3
		.amdhsa_float_denorm_mode_16_64 3
		.amdhsa_dx10_clamp 1
		.amdhsa_ieee_mode 1
		.amdhsa_fp16_overflow 0
		.amdhsa_workgroup_processor_mode 1
		.amdhsa_memory_ordered 1
		.amdhsa_forward_progress 0
		.amdhsa_shared_vgpr_count 0
		.amdhsa_exception_fp_ieee_invalid_op 0
		.amdhsa_exception_fp_denorm_src 0
		.amdhsa_exception_fp_ieee_div_zero 0
		.amdhsa_exception_fp_ieee_overflow 0
		.amdhsa_exception_fp_ieee_underflow 0
		.amdhsa_exception_fp_ieee_inexact 0
		.amdhsa_exception_int_div_zero 0
	.end_amdhsa_kernel
	.section	.text._Z24warp_load_guarded_kernelILj1024ELj4ELj16ELN6hipcub17WarpLoadAlgorithmE3EiEvPT3_S3_iS2_,"axG",@progbits,_Z24warp_load_guarded_kernelILj1024ELj4ELj16ELN6hipcub17WarpLoadAlgorithmE3EiEvPT3_S3_iS2_,comdat
.Lfunc_end24:
	.size	_Z24warp_load_guarded_kernelILj1024ELj4ELj16ELN6hipcub17WarpLoadAlgorithmE3EiEvPT3_S3_iS2_, .Lfunc_end24-_Z24warp_load_guarded_kernelILj1024ELj4ELj16ELN6hipcub17WarpLoadAlgorithmE3EiEvPT3_S3_iS2_
                                        ; -- End function
	.section	.AMDGPU.csdata,"",@progbits
; Kernel info:
; codeLenInByte = 348
; NumSgprs: 12
; NumVgprs: 11
; ScratchSize: 0
; MemoryBound: 0
; FloatMode: 240
; IeeeMode: 1
; LDSByteSize: 16384 bytes/workgroup (compile time only)
; SGPRBlocks: 1
; VGPRBlocks: 1
; NumSGPRsForWavesPerEU: 12
; NumVGPRsForWavesPerEU: 11
; Occupancy: 16
; WaveLimiterHint : 0
; COMPUTE_PGM_RSRC2:SCRATCH_EN: 0
; COMPUTE_PGM_RSRC2:USER_SGPR: 15
; COMPUTE_PGM_RSRC2:TRAP_HANDLER: 0
; COMPUTE_PGM_RSRC2:TGID_X_EN: 1
; COMPUTE_PGM_RSRC2:TGID_Y_EN: 0
; COMPUTE_PGM_RSRC2:TGID_Z_EN: 0
; COMPUTE_PGM_RSRC2:TIDIG_COMP_CNT: 0
	.section	.text._Z24warp_load_guarded_kernelILj1024ELj4ELj16ELN6hipcub17WarpLoadAlgorithmE2EiEvPT3_S3_iS2_,"axG",@progbits,_Z24warp_load_guarded_kernelILj1024ELj4ELj16ELN6hipcub17WarpLoadAlgorithmE2EiEvPT3_S3_iS2_,comdat
	.protected	_Z24warp_load_guarded_kernelILj1024ELj4ELj16ELN6hipcub17WarpLoadAlgorithmE2EiEvPT3_S3_iS2_ ; -- Begin function _Z24warp_load_guarded_kernelILj1024ELj4ELj16ELN6hipcub17WarpLoadAlgorithmE2EiEvPT3_S3_iS2_
	.globl	_Z24warp_load_guarded_kernelILj1024ELj4ELj16ELN6hipcub17WarpLoadAlgorithmE2EiEvPT3_S3_iS2_
	.p2align	8
	.type	_Z24warp_load_guarded_kernelILj1024ELj4ELj16ELN6hipcub17WarpLoadAlgorithmE2EiEvPT3_S3_iS2_,@function
_Z24warp_load_guarded_kernelILj1024ELj4ELj16ELN6hipcub17WarpLoadAlgorithmE2EiEvPT3_S3_iS2_: ; @_Z24warp_load_guarded_kernelILj1024ELj4ELj16ELN6hipcub17WarpLoadAlgorithmE2EiEvPT3_S3_iS2_
; %bb.0:
	s_clause 0x1
	s_load_b128 s[4:7], s[0:1], 0x0
	s_load_b64 s[2:3], s[0:1], 0x10
	v_mbcnt_lo_u32_b32 v1, -1, 0
	s_waitcnt lgkmcnt(0)
	s_mov_b32 s8, s3
	s_mov_b32 s9, s3
	;; [unrolled: 1-line block ×4, first 2 shown]
	v_lshlrev_b32_e32 v1, 2, v1
	v_lshlrev_b32_e32 v2, 4, v0
	s_delay_alu instid0(VALU_DEP_2) | instskip(NEXT) | instid1(VALU_DEP_2)
	v_and_b32_e32 v7, 60, v1
	v_and_b32_e32 v1, 0x3f00, v2
	s_delay_alu instid0(VALU_DEP_2) | instskip(NEXT) | instid1(VALU_DEP_2)
	v_lshlrev_b32_e32 v2, 2, v7
	v_add_co_u32 v1, s0, s4, v1
	s_delay_alu instid0(VALU_DEP_1) | instskip(NEXT) | instid1(VALU_DEP_2)
	v_add_co_ci_u32_e64 v3, null, s5, 0, s0
	v_add_co_u32 v5, s0, v1, v2
	s_delay_alu instid0(VALU_DEP_1)
	v_add_co_ci_u32_e64 v6, s0, 0, v3, s0
	v_dual_mov_b32 v1, s8 :: v_dual_mov_b32 v4, s11
	v_dual_mov_b32 v2, s9 :: v_dual_mov_b32 v3, s10
	s_mov_b32 s0, exec_lo
	v_cmpx_gt_u32_e64 s2, v7
	s_cbranch_execz .LBB25_2
; %bb.1:
	global_load_b32 v8, v[5:6], off
	v_dual_mov_b32 v1, s8 :: v_dual_mov_b32 v2, s9
	v_dual_mov_b32 v3, s10 :: v_dual_mov_b32 v4, s11
	s_waitcnt vmcnt(0)
	v_mov_b32_e32 v1, v8
.LBB25_2:
	s_or_b32 exec_lo, exec_lo, s0
	v_or_b32_e32 v8, 1, v7
	s_mov_b32 s0, exec_lo
	s_delay_alu instid0(VALU_DEP_1)
	v_cmpx_gt_u32_e64 s2, v8
	s_cbranch_execz .LBB25_4
; %bb.3:
	global_load_b32 v2, v[5:6], off offset:4
.LBB25_4:
	s_or_b32 exec_lo, exec_lo, s0
	v_or_b32_e32 v8, 2, v7
	s_mov_b32 s0, exec_lo
	s_delay_alu instid0(VALU_DEP_1)
	v_cmpx_gt_u32_e64 s2, v8
	s_cbranch_execz .LBB25_6
; %bb.5:
	global_load_b32 v3, v[5:6], off offset:8
.LBB25_6:
	s_or_b32 exec_lo, exec_lo, s0
	v_or_b32_e32 v7, 3, v7
	v_lshlrev_b32_e32 v0, 2, v0
	s_mov_b32 s0, exec_lo
	s_delay_alu instid0(VALU_DEP_2)
	v_cmpx_gt_u32_e64 s2, v7
	s_cbranch_execz .LBB25_8
; %bb.7:
	global_load_b32 v4, v[5:6], off offset:12
.LBB25_8:
	s_or_b32 exec_lo, exec_lo, s0
	v_lshlrev_b32_e32 v0, 2, v0
	s_waitcnt vmcnt(0)
	global_store_b128 v0, v[1:4], s[6:7]
	s_nop 0
	s_sendmsg sendmsg(MSG_DEALLOC_VGPRS)
	s_endpgm
	.section	.rodata,"a",@progbits
	.p2align	6, 0x0
	.amdhsa_kernel _Z24warp_load_guarded_kernelILj1024ELj4ELj16ELN6hipcub17WarpLoadAlgorithmE2EiEvPT3_S3_iS2_
		.amdhsa_group_segment_fixed_size 0
		.amdhsa_private_segment_fixed_size 0
		.amdhsa_kernarg_size 24
		.amdhsa_user_sgpr_count 15
		.amdhsa_user_sgpr_dispatch_ptr 0
		.amdhsa_user_sgpr_queue_ptr 0
		.amdhsa_user_sgpr_kernarg_segment_ptr 1
		.amdhsa_user_sgpr_dispatch_id 0
		.amdhsa_user_sgpr_private_segment_size 0
		.amdhsa_wavefront_size32 1
		.amdhsa_uses_dynamic_stack 0
		.amdhsa_enable_private_segment 0
		.amdhsa_system_sgpr_workgroup_id_x 1
		.amdhsa_system_sgpr_workgroup_id_y 0
		.amdhsa_system_sgpr_workgroup_id_z 0
		.amdhsa_system_sgpr_workgroup_info 0
		.amdhsa_system_vgpr_workitem_id 0
		.amdhsa_next_free_vgpr 9
		.amdhsa_next_free_sgpr 12
		.amdhsa_reserve_vcc 0
		.amdhsa_float_round_mode_32 0
		.amdhsa_float_round_mode_16_64 0
		.amdhsa_float_denorm_mode_32 3
		.amdhsa_float_denorm_mode_16_64 3
		.amdhsa_dx10_clamp 1
		.amdhsa_ieee_mode 1
		.amdhsa_fp16_overflow 0
		.amdhsa_workgroup_processor_mode 1
		.amdhsa_memory_ordered 1
		.amdhsa_forward_progress 0
		.amdhsa_shared_vgpr_count 0
		.amdhsa_exception_fp_ieee_invalid_op 0
		.amdhsa_exception_fp_denorm_src 0
		.amdhsa_exception_fp_ieee_div_zero 0
		.amdhsa_exception_fp_ieee_overflow 0
		.amdhsa_exception_fp_ieee_underflow 0
		.amdhsa_exception_fp_ieee_inexact 0
		.amdhsa_exception_int_div_zero 0
	.end_amdhsa_kernel
	.section	.text._Z24warp_load_guarded_kernelILj1024ELj4ELj16ELN6hipcub17WarpLoadAlgorithmE2EiEvPT3_S3_iS2_,"axG",@progbits,_Z24warp_load_guarded_kernelILj1024ELj4ELj16ELN6hipcub17WarpLoadAlgorithmE2EiEvPT3_S3_iS2_,comdat
.Lfunc_end25:
	.size	_Z24warp_load_guarded_kernelILj1024ELj4ELj16ELN6hipcub17WarpLoadAlgorithmE2EiEvPT3_S3_iS2_, .Lfunc_end25-_Z24warp_load_guarded_kernelILj1024ELj4ELj16ELN6hipcub17WarpLoadAlgorithmE2EiEvPT3_S3_iS2_
                                        ; -- End function
	.section	.AMDGPU.csdata,"",@progbits
; Kernel info:
; codeLenInByte = 328
; NumSgprs: 12
; NumVgprs: 9
; ScratchSize: 0
; MemoryBound: 0
; FloatMode: 240
; IeeeMode: 1
; LDSByteSize: 0 bytes/workgroup (compile time only)
; SGPRBlocks: 1
; VGPRBlocks: 1
; NumSGPRsForWavesPerEU: 12
; NumVGPRsForWavesPerEU: 9
; Occupancy: 16
; WaveLimiterHint : 0
; COMPUTE_PGM_RSRC2:SCRATCH_EN: 0
; COMPUTE_PGM_RSRC2:USER_SGPR: 15
; COMPUTE_PGM_RSRC2:TRAP_HANDLER: 0
; COMPUTE_PGM_RSRC2:TGID_X_EN: 1
; COMPUTE_PGM_RSRC2:TGID_Y_EN: 0
; COMPUTE_PGM_RSRC2:TGID_Z_EN: 0
; COMPUTE_PGM_RSRC2:TIDIG_COMP_CNT: 0
	.section	.text._Z24warp_load_guarded_kernelILj1024ELj4ELj16ELN6hipcub17WarpLoadAlgorithmE1EiEvPT3_S3_iS2_,"axG",@progbits,_Z24warp_load_guarded_kernelILj1024ELj4ELj16ELN6hipcub17WarpLoadAlgorithmE1EiEvPT3_S3_iS2_,comdat
	.protected	_Z24warp_load_guarded_kernelILj1024ELj4ELj16ELN6hipcub17WarpLoadAlgorithmE1EiEvPT3_S3_iS2_ ; -- Begin function _Z24warp_load_guarded_kernelILj1024ELj4ELj16ELN6hipcub17WarpLoadAlgorithmE1EiEvPT3_S3_iS2_
	.globl	_Z24warp_load_guarded_kernelILj1024ELj4ELj16ELN6hipcub17WarpLoadAlgorithmE1EiEvPT3_S3_iS2_
	.p2align	8
	.type	_Z24warp_load_guarded_kernelILj1024ELj4ELj16ELN6hipcub17WarpLoadAlgorithmE1EiEvPT3_S3_iS2_,@function
_Z24warp_load_guarded_kernelILj1024ELj4ELj16ELN6hipcub17WarpLoadAlgorithmE1EiEvPT3_S3_iS2_: ; @_Z24warp_load_guarded_kernelILj1024ELj4ELj16ELN6hipcub17WarpLoadAlgorithmE1EiEvPT3_S3_iS2_
; %bb.0:
	s_clause 0x1
	s_load_b128 s[4:7], s[0:1], 0x0
	s_load_b64 s[2:3], s[0:1], 0x10
	v_mbcnt_lo_u32_b32 v1, -1, 0
	s_waitcnt lgkmcnt(0)
	s_mov_b32 s8, s3
	s_mov_b32 s9, s3
	;; [unrolled: 1-line block ×4, first 2 shown]
	v_lshlrev_b32_e32 v2, 4, v0
	v_and_b32_e32 v7, 15, v1
	s_delay_alu instid0(VALU_DEP_2) | instskip(NEXT) | instid1(VALU_DEP_2)
	v_and_b32_e32 v1, 0x3f00, v2
	v_lshlrev_b32_e32 v2, 2, v7
	s_delay_alu instid0(VALU_DEP_2) | instskip(NEXT) | instid1(VALU_DEP_1)
	v_add_co_u32 v1, s0, s4, v1
	v_add_co_ci_u32_e64 v3, null, s5, 0, s0
	s_delay_alu instid0(VALU_DEP_2) | instskip(NEXT) | instid1(VALU_DEP_1)
	v_add_co_u32 v5, s0, v1, v2
	v_add_co_ci_u32_e64 v6, s0, 0, v3, s0
	v_dual_mov_b32 v1, s8 :: v_dual_mov_b32 v4, s11
	v_dual_mov_b32 v2, s9 :: v_dual_mov_b32 v3, s10
	s_mov_b32 s0, exec_lo
	v_cmpx_gt_u32_e64 s2, v7
	s_cbranch_execz .LBB26_2
; %bb.1:
	global_load_b32 v8, v[5:6], off
	v_dual_mov_b32 v1, s8 :: v_dual_mov_b32 v2, s9
	v_dual_mov_b32 v3, s10 :: v_dual_mov_b32 v4, s11
	s_waitcnt vmcnt(0)
	v_mov_b32_e32 v1, v8
.LBB26_2:
	s_or_b32 exec_lo, exec_lo, s0
	v_or_b32_e32 v8, 16, v7
	s_mov_b32 s0, exec_lo
	s_delay_alu instid0(VALU_DEP_1)
	v_cmpx_gt_u32_e64 s2, v8
	s_cbranch_execz .LBB26_4
; %bb.3:
	global_load_b32 v2, v[5:6], off offset:64
.LBB26_4:
	s_or_b32 exec_lo, exec_lo, s0
	v_or_b32_e32 v8, 32, v7
	s_mov_b32 s0, exec_lo
	s_delay_alu instid0(VALU_DEP_1)
	v_cmpx_gt_u32_e64 s2, v8
	s_cbranch_execz .LBB26_6
; %bb.5:
	global_load_b32 v3, v[5:6], off offset:128
.LBB26_6:
	s_or_b32 exec_lo, exec_lo, s0
	v_or_b32_e32 v7, 48, v7
	v_lshlrev_b32_e32 v0, 2, v0
	s_mov_b32 s0, exec_lo
	s_delay_alu instid0(VALU_DEP_2)
	v_cmpx_gt_u32_e64 s2, v7
	s_cbranch_execz .LBB26_8
; %bb.7:
	global_load_b32 v4, v[5:6], off offset:192
.LBB26_8:
	s_or_b32 exec_lo, exec_lo, s0
	v_lshlrev_b32_e32 v0, 2, v0
	s_waitcnt vmcnt(0)
	global_store_b128 v0, v[1:4], s[6:7]
	s_nop 0
	s_sendmsg sendmsg(MSG_DEALLOC_VGPRS)
	s_endpgm
	.section	.rodata,"a",@progbits
	.p2align	6, 0x0
	.amdhsa_kernel _Z24warp_load_guarded_kernelILj1024ELj4ELj16ELN6hipcub17WarpLoadAlgorithmE1EiEvPT3_S3_iS2_
		.amdhsa_group_segment_fixed_size 0
		.amdhsa_private_segment_fixed_size 0
		.amdhsa_kernarg_size 24
		.amdhsa_user_sgpr_count 15
		.amdhsa_user_sgpr_dispatch_ptr 0
		.amdhsa_user_sgpr_queue_ptr 0
		.amdhsa_user_sgpr_kernarg_segment_ptr 1
		.amdhsa_user_sgpr_dispatch_id 0
		.amdhsa_user_sgpr_private_segment_size 0
		.amdhsa_wavefront_size32 1
		.amdhsa_uses_dynamic_stack 0
		.amdhsa_enable_private_segment 0
		.amdhsa_system_sgpr_workgroup_id_x 1
		.amdhsa_system_sgpr_workgroup_id_y 0
		.amdhsa_system_sgpr_workgroup_id_z 0
		.amdhsa_system_sgpr_workgroup_info 0
		.amdhsa_system_vgpr_workitem_id 0
		.amdhsa_next_free_vgpr 9
		.amdhsa_next_free_sgpr 12
		.amdhsa_reserve_vcc 0
		.amdhsa_float_round_mode_32 0
		.amdhsa_float_round_mode_16_64 0
		.amdhsa_float_denorm_mode_32 3
		.amdhsa_float_denorm_mode_16_64 3
		.amdhsa_dx10_clamp 1
		.amdhsa_ieee_mode 1
		.amdhsa_fp16_overflow 0
		.amdhsa_workgroup_processor_mode 1
		.amdhsa_memory_ordered 1
		.amdhsa_forward_progress 0
		.amdhsa_shared_vgpr_count 0
		.amdhsa_exception_fp_ieee_invalid_op 0
		.amdhsa_exception_fp_denorm_src 0
		.amdhsa_exception_fp_ieee_div_zero 0
		.amdhsa_exception_fp_ieee_overflow 0
		.amdhsa_exception_fp_ieee_underflow 0
		.amdhsa_exception_fp_ieee_inexact 0
		.amdhsa_exception_int_div_zero 0
	.end_amdhsa_kernel
	.section	.text._Z24warp_load_guarded_kernelILj1024ELj4ELj16ELN6hipcub17WarpLoadAlgorithmE1EiEvPT3_S3_iS2_,"axG",@progbits,_Z24warp_load_guarded_kernelILj1024ELj4ELj16ELN6hipcub17WarpLoadAlgorithmE1EiEvPT3_S3_iS2_,comdat
.Lfunc_end26:
	.size	_Z24warp_load_guarded_kernelILj1024ELj4ELj16ELN6hipcub17WarpLoadAlgorithmE1EiEvPT3_S3_iS2_, .Lfunc_end26-_Z24warp_load_guarded_kernelILj1024ELj4ELj16ELN6hipcub17WarpLoadAlgorithmE1EiEvPT3_S3_iS2_
                                        ; -- End function
	.section	.AMDGPU.csdata,"",@progbits
; Kernel info:
; codeLenInByte = 320
; NumSgprs: 12
; NumVgprs: 9
; ScratchSize: 0
; MemoryBound: 0
; FloatMode: 240
; IeeeMode: 1
; LDSByteSize: 0 bytes/workgroup (compile time only)
; SGPRBlocks: 1
; VGPRBlocks: 1
; NumSGPRsForWavesPerEU: 12
; NumVGPRsForWavesPerEU: 9
; Occupancy: 16
; WaveLimiterHint : 0
; COMPUTE_PGM_RSRC2:SCRATCH_EN: 0
; COMPUTE_PGM_RSRC2:USER_SGPR: 15
; COMPUTE_PGM_RSRC2:TRAP_HANDLER: 0
; COMPUTE_PGM_RSRC2:TGID_X_EN: 1
; COMPUTE_PGM_RSRC2:TGID_Y_EN: 0
; COMPUTE_PGM_RSRC2:TGID_Z_EN: 0
; COMPUTE_PGM_RSRC2:TIDIG_COMP_CNT: 0
	.section	.text._Z24warp_load_guarded_kernelILj1024ELj4ELj16ELN6hipcub17WarpLoadAlgorithmE0EiEvPT3_S3_iS2_,"axG",@progbits,_Z24warp_load_guarded_kernelILj1024ELj4ELj16ELN6hipcub17WarpLoadAlgorithmE0EiEvPT3_S3_iS2_,comdat
	.protected	_Z24warp_load_guarded_kernelILj1024ELj4ELj16ELN6hipcub17WarpLoadAlgorithmE0EiEvPT3_S3_iS2_ ; -- Begin function _Z24warp_load_guarded_kernelILj1024ELj4ELj16ELN6hipcub17WarpLoadAlgorithmE0EiEvPT3_S3_iS2_
	.globl	_Z24warp_load_guarded_kernelILj1024ELj4ELj16ELN6hipcub17WarpLoadAlgorithmE0EiEvPT3_S3_iS2_
	.p2align	8
	.type	_Z24warp_load_guarded_kernelILj1024ELj4ELj16ELN6hipcub17WarpLoadAlgorithmE0EiEvPT3_S3_iS2_,@function
_Z24warp_load_guarded_kernelILj1024ELj4ELj16ELN6hipcub17WarpLoadAlgorithmE0EiEvPT3_S3_iS2_: ; @_Z24warp_load_guarded_kernelILj1024ELj4ELj16ELN6hipcub17WarpLoadAlgorithmE0EiEvPT3_S3_iS2_
; %bb.0:
	s_clause 0x1
	s_load_b128 s[4:7], s[0:1], 0x0
	s_load_b64 s[2:3], s[0:1], 0x10
	v_mbcnt_lo_u32_b32 v1, -1, 0
	s_waitcnt lgkmcnt(0)
	s_mov_b32 s8, s3
	s_mov_b32 s9, s3
	;; [unrolled: 1-line block ×4, first 2 shown]
	v_lshlrev_b32_e32 v1, 2, v1
	v_lshlrev_b32_e32 v2, 4, v0
	s_delay_alu instid0(VALU_DEP_2) | instskip(NEXT) | instid1(VALU_DEP_2)
	v_and_b32_e32 v7, 60, v1
	v_and_b32_e32 v1, 0x3f00, v2
	s_delay_alu instid0(VALU_DEP_2) | instskip(NEXT) | instid1(VALU_DEP_2)
	v_lshlrev_b32_e32 v2, 2, v7
	v_add_co_u32 v1, s0, s4, v1
	s_delay_alu instid0(VALU_DEP_1) | instskip(NEXT) | instid1(VALU_DEP_2)
	v_add_co_ci_u32_e64 v3, null, s5, 0, s0
	v_add_co_u32 v5, s0, v1, v2
	s_delay_alu instid0(VALU_DEP_1)
	v_add_co_ci_u32_e64 v6, s0, 0, v3, s0
	v_dual_mov_b32 v1, s8 :: v_dual_mov_b32 v4, s11
	v_dual_mov_b32 v2, s9 :: v_dual_mov_b32 v3, s10
	s_mov_b32 s0, exec_lo
	v_cmpx_gt_u32_e64 s2, v7
	s_cbranch_execz .LBB27_2
; %bb.1:
	global_load_b32 v8, v[5:6], off
	v_dual_mov_b32 v1, s8 :: v_dual_mov_b32 v2, s9
	v_dual_mov_b32 v3, s10 :: v_dual_mov_b32 v4, s11
	s_waitcnt vmcnt(0)
	v_mov_b32_e32 v1, v8
.LBB27_2:
	s_or_b32 exec_lo, exec_lo, s0
	v_or_b32_e32 v8, 1, v7
	s_mov_b32 s0, exec_lo
	s_delay_alu instid0(VALU_DEP_1)
	v_cmpx_gt_u32_e64 s2, v8
	s_cbranch_execz .LBB27_4
; %bb.3:
	global_load_b32 v2, v[5:6], off offset:4
.LBB27_4:
	s_or_b32 exec_lo, exec_lo, s0
	v_or_b32_e32 v8, 2, v7
	s_mov_b32 s0, exec_lo
	s_delay_alu instid0(VALU_DEP_1)
	v_cmpx_gt_u32_e64 s2, v8
	s_cbranch_execz .LBB27_6
; %bb.5:
	global_load_b32 v3, v[5:6], off offset:8
.LBB27_6:
	s_or_b32 exec_lo, exec_lo, s0
	v_or_b32_e32 v7, 3, v7
	v_lshlrev_b32_e32 v0, 2, v0
	s_mov_b32 s0, exec_lo
	s_delay_alu instid0(VALU_DEP_2)
	v_cmpx_gt_u32_e64 s2, v7
	s_cbranch_execz .LBB27_8
; %bb.7:
	global_load_b32 v4, v[5:6], off offset:12
.LBB27_8:
	s_or_b32 exec_lo, exec_lo, s0
	v_lshlrev_b32_e32 v0, 2, v0
	s_waitcnt vmcnt(0)
	global_store_b128 v0, v[1:4], s[6:7]
	s_nop 0
	s_sendmsg sendmsg(MSG_DEALLOC_VGPRS)
	s_endpgm
	.section	.rodata,"a",@progbits
	.p2align	6, 0x0
	.amdhsa_kernel _Z24warp_load_guarded_kernelILj1024ELj4ELj16ELN6hipcub17WarpLoadAlgorithmE0EiEvPT3_S3_iS2_
		.amdhsa_group_segment_fixed_size 0
		.amdhsa_private_segment_fixed_size 0
		.amdhsa_kernarg_size 24
		.amdhsa_user_sgpr_count 15
		.amdhsa_user_sgpr_dispatch_ptr 0
		.amdhsa_user_sgpr_queue_ptr 0
		.amdhsa_user_sgpr_kernarg_segment_ptr 1
		.amdhsa_user_sgpr_dispatch_id 0
		.amdhsa_user_sgpr_private_segment_size 0
		.amdhsa_wavefront_size32 1
		.amdhsa_uses_dynamic_stack 0
		.amdhsa_enable_private_segment 0
		.amdhsa_system_sgpr_workgroup_id_x 1
		.amdhsa_system_sgpr_workgroup_id_y 0
		.amdhsa_system_sgpr_workgroup_id_z 0
		.amdhsa_system_sgpr_workgroup_info 0
		.amdhsa_system_vgpr_workitem_id 0
		.amdhsa_next_free_vgpr 9
		.amdhsa_next_free_sgpr 12
		.amdhsa_reserve_vcc 0
		.amdhsa_float_round_mode_32 0
		.amdhsa_float_round_mode_16_64 0
		.amdhsa_float_denorm_mode_32 3
		.amdhsa_float_denorm_mode_16_64 3
		.amdhsa_dx10_clamp 1
		.amdhsa_ieee_mode 1
		.amdhsa_fp16_overflow 0
		.amdhsa_workgroup_processor_mode 1
		.amdhsa_memory_ordered 1
		.amdhsa_forward_progress 0
		.amdhsa_shared_vgpr_count 0
		.amdhsa_exception_fp_ieee_invalid_op 0
		.amdhsa_exception_fp_denorm_src 0
		.amdhsa_exception_fp_ieee_div_zero 0
		.amdhsa_exception_fp_ieee_overflow 0
		.amdhsa_exception_fp_ieee_underflow 0
		.amdhsa_exception_fp_ieee_inexact 0
		.amdhsa_exception_int_div_zero 0
	.end_amdhsa_kernel
	.section	.text._Z24warp_load_guarded_kernelILj1024ELj4ELj16ELN6hipcub17WarpLoadAlgorithmE0EiEvPT3_S3_iS2_,"axG",@progbits,_Z24warp_load_guarded_kernelILj1024ELj4ELj16ELN6hipcub17WarpLoadAlgorithmE0EiEvPT3_S3_iS2_,comdat
.Lfunc_end27:
	.size	_Z24warp_load_guarded_kernelILj1024ELj4ELj16ELN6hipcub17WarpLoadAlgorithmE0EiEvPT3_S3_iS2_, .Lfunc_end27-_Z24warp_load_guarded_kernelILj1024ELj4ELj16ELN6hipcub17WarpLoadAlgorithmE0EiEvPT3_S3_iS2_
                                        ; -- End function
	.section	.AMDGPU.csdata,"",@progbits
; Kernel info:
; codeLenInByte = 328
; NumSgprs: 12
; NumVgprs: 9
; ScratchSize: 0
; MemoryBound: 0
; FloatMode: 240
; IeeeMode: 1
; LDSByteSize: 0 bytes/workgroup (compile time only)
; SGPRBlocks: 1
; VGPRBlocks: 1
; NumSGPRsForWavesPerEU: 12
; NumVGPRsForWavesPerEU: 9
; Occupancy: 16
; WaveLimiterHint : 0
; COMPUTE_PGM_RSRC2:SCRATCH_EN: 0
; COMPUTE_PGM_RSRC2:USER_SGPR: 15
; COMPUTE_PGM_RSRC2:TRAP_HANDLER: 0
; COMPUTE_PGM_RSRC2:TGID_X_EN: 1
; COMPUTE_PGM_RSRC2:TGID_Y_EN: 0
; COMPUTE_PGM_RSRC2:TGID_Z_EN: 0
; COMPUTE_PGM_RSRC2:TIDIG_COMP_CNT: 0
	.section	.text._Z24warp_load_guarded_kernelILj1024ELj4ELj1ELN6hipcub17WarpLoadAlgorithmE3EiEvPT3_S3_iS2_,"axG",@progbits,_Z24warp_load_guarded_kernelILj1024ELj4ELj1ELN6hipcub17WarpLoadAlgorithmE3EiEvPT3_S3_iS2_,comdat
	.protected	_Z24warp_load_guarded_kernelILj1024ELj4ELj1ELN6hipcub17WarpLoadAlgorithmE3EiEvPT3_S3_iS2_ ; -- Begin function _Z24warp_load_guarded_kernelILj1024ELj4ELj1ELN6hipcub17WarpLoadAlgorithmE3EiEvPT3_S3_iS2_
	.globl	_Z24warp_load_guarded_kernelILj1024ELj4ELj1ELN6hipcub17WarpLoadAlgorithmE3EiEvPT3_S3_iS2_
	.p2align	8
	.type	_Z24warp_load_guarded_kernelILj1024ELj4ELj1ELN6hipcub17WarpLoadAlgorithmE3EiEvPT3_S3_iS2_,@function
_Z24warp_load_guarded_kernelILj1024ELj4ELj1ELN6hipcub17WarpLoadAlgorithmE3EiEvPT3_S3_iS2_: ; @_Z24warp_load_guarded_kernelILj1024ELj4ELj1ELN6hipcub17WarpLoadAlgorithmE3EiEvPT3_S3_iS2_
; %bb.0:
	s_clause 0x1
	s_load_b128 s[4:7], s[0:1], 0x0
	s_load_b64 s[8:9], s[0:1], 0x10
	v_lshlrev_b32_e32 v8, 4, v0
	s_waitcnt lgkmcnt(0)
	s_delay_alu instid0(VALU_DEP_1) | instskip(NEXT) | instid1(VALU_DEP_1)
	v_add_co_u32 v6, s0, s4, v8
	v_add_co_ci_u32_e64 v7, null, s5, 0, s0
	s_mov_b32 s0, s9
	s_mov_b32 s1, s9
	;; [unrolled: 1-line block ×3, first 2 shown]
	s_cmp_eq_u32 s8, 0
	s_mov_b32 s3, s9
	s_cbranch_scc1 .LBB28_8
; %bb.1:
	global_load_b32 v1, v[6:7], off
	v_dual_mov_b32 v5, s3 :: v_dual_mov_b32 v4, s2
	v_dual_mov_b32 v3, s1 :: v_dual_mov_b32 v2, s0
                                        ; kill: def $vgpr2 killed $vgpr1 killed $exec
	s_cmp_lt_u32 s8, 2
	s_cbranch_scc1 .LBB28_3
.LBB28_2:
	global_load_b32 v3, v[6:7], off offset:4
.LBB28_3:
	v_lshlrev_b32_e32 v0, 2, v0
	s_cmp_lt_u32 s8, 3
	s_cbranch_scc0 .LBB28_7
; %bb.4:
	s_cmp_lt_u32 s8, 4
	s_cbranch_scc1 .LBB28_6
.LBB28_5:
	global_load_b32 v5, v[6:7], off offset:12
.LBB28_6:
	s_waitcnt vmcnt(0)
	v_dual_mov_b32 v2, v3 :: v_dual_mov_b32 v3, v4
	v_mov_b32_e32 v4, v5
	v_lshlrev_b32_e32 v0, 2, v0
	ds_store_b128 v8, v[1:4]
	; wave barrier
	ds_load_b128 v[1:4], v8
	s_waitcnt lgkmcnt(0)
	global_store_b128 v0, v[1:4], s[6:7]
	s_nop 0
	s_sendmsg sendmsg(MSG_DEALLOC_VGPRS)
	s_endpgm
.LBB28_7:
	global_load_b32 v4, v[6:7], off offset:8
	s_cmp_lt_u32 s8, 4
	s_cbranch_scc0 .LBB28_5
	s_branch .LBB28_6
.LBB28_8:
	v_dual_mov_b32 v5, s3 :: v_dual_mov_b32 v4, s2
	v_dual_mov_b32 v3, s1 :: v_dual_mov_b32 v2, s0
	v_mov_b32_e32 v1, s9
	s_cmp_lt_u32 s8, 2
	s_cbranch_scc0 .LBB28_2
	s_branch .LBB28_3
	.section	.rodata,"a",@progbits
	.p2align	6, 0x0
	.amdhsa_kernel _Z24warp_load_guarded_kernelILj1024ELj4ELj1ELN6hipcub17WarpLoadAlgorithmE3EiEvPT3_S3_iS2_
		.amdhsa_group_segment_fixed_size 16384
		.amdhsa_private_segment_fixed_size 0
		.amdhsa_kernarg_size 24
		.amdhsa_user_sgpr_count 15
		.amdhsa_user_sgpr_dispatch_ptr 0
		.amdhsa_user_sgpr_queue_ptr 0
		.amdhsa_user_sgpr_kernarg_segment_ptr 1
		.amdhsa_user_sgpr_dispatch_id 0
		.amdhsa_user_sgpr_private_segment_size 0
		.amdhsa_wavefront_size32 1
		.amdhsa_uses_dynamic_stack 0
		.amdhsa_enable_private_segment 0
		.amdhsa_system_sgpr_workgroup_id_x 1
		.amdhsa_system_sgpr_workgroup_id_y 0
		.amdhsa_system_sgpr_workgroup_id_z 0
		.amdhsa_system_sgpr_workgroup_info 0
		.amdhsa_system_vgpr_workitem_id 0
		.amdhsa_next_free_vgpr 9
		.amdhsa_next_free_sgpr 10
		.amdhsa_reserve_vcc 0
		.amdhsa_float_round_mode_32 0
		.amdhsa_float_round_mode_16_64 0
		.amdhsa_float_denorm_mode_32 3
		.amdhsa_float_denorm_mode_16_64 3
		.amdhsa_dx10_clamp 1
		.amdhsa_ieee_mode 1
		.amdhsa_fp16_overflow 0
		.amdhsa_workgroup_processor_mode 1
		.amdhsa_memory_ordered 1
		.amdhsa_forward_progress 0
		.amdhsa_shared_vgpr_count 0
		.amdhsa_exception_fp_ieee_invalid_op 0
		.amdhsa_exception_fp_denorm_src 0
		.amdhsa_exception_fp_ieee_div_zero 0
		.amdhsa_exception_fp_ieee_overflow 0
		.amdhsa_exception_fp_ieee_underflow 0
		.amdhsa_exception_fp_ieee_inexact 0
		.amdhsa_exception_int_div_zero 0
	.end_amdhsa_kernel
	.section	.text._Z24warp_load_guarded_kernelILj1024ELj4ELj1ELN6hipcub17WarpLoadAlgorithmE3EiEvPT3_S3_iS2_,"axG",@progbits,_Z24warp_load_guarded_kernelILj1024ELj4ELj1ELN6hipcub17WarpLoadAlgorithmE3EiEvPT3_S3_iS2_,comdat
.Lfunc_end28:
	.size	_Z24warp_load_guarded_kernelILj1024ELj4ELj1ELN6hipcub17WarpLoadAlgorithmE3EiEvPT3_S3_iS2_, .Lfunc_end28-_Z24warp_load_guarded_kernelILj1024ELj4ELj1ELN6hipcub17WarpLoadAlgorithmE3EiEvPT3_S3_iS2_
                                        ; -- End function
	.section	.AMDGPU.csdata,"",@progbits
; Kernel info:
; codeLenInByte = 252
; NumSgprs: 10
; NumVgprs: 9
; ScratchSize: 0
; MemoryBound: 0
; FloatMode: 240
; IeeeMode: 1
; LDSByteSize: 16384 bytes/workgroup (compile time only)
; SGPRBlocks: 1
; VGPRBlocks: 1
; NumSGPRsForWavesPerEU: 10
; NumVGPRsForWavesPerEU: 9
; Occupancy: 16
; WaveLimiterHint : 0
; COMPUTE_PGM_RSRC2:SCRATCH_EN: 0
; COMPUTE_PGM_RSRC2:USER_SGPR: 15
; COMPUTE_PGM_RSRC2:TRAP_HANDLER: 0
; COMPUTE_PGM_RSRC2:TGID_X_EN: 1
; COMPUTE_PGM_RSRC2:TGID_Y_EN: 0
; COMPUTE_PGM_RSRC2:TGID_Z_EN: 0
; COMPUTE_PGM_RSRC2:TIDIG_COMP_CNT: 0
	.section	.text._Z24warp_load_guarded_kernelILj1024ELj4ELj1ELN6hipcub17WarpLoadAlgorithmE2EiEvPT3_S3_iS2_,"axG",@progbits,_Z24warp_load_guarded_kernelILj1024ELj4ELj1ELN6hipcub17WarpLoadAlgorithmE2EiEvPT3_S3_iS2_,comdat
	.protected	_Z24warp_load_guarded_kernelILj1024ELj4ELj1ELN6hipcub17WarpLoadAlgorithmE2EiEvPT3_S3_iS2_ ; -- Begin function _Z24warp_load_guarded_kernelILj1024ELj4ELj1ELN6hipcub17WarpLoadAlgorithmE2EiEvPT3_S3_iS2_
	.globl	_Z24warp_load_guarded_kernelILj1024ELj4ELj1ELN6hipcub17WarpLoadAlgorithmE2EiEvPT3_S3_iS2_
	.p2align	8
	.type	_Z24warp_load_guarded_kernelILj1024ELj4ELj1ELN6hipcub17WarpLoadAlgorithmE2EiEvPT3_S3_iS2_,@function
_Z24warp_load_guarded_kernelILj1024ELj4ELj1ELN6hipcub17WarpLoadAlgorithmE2EiEvPT3_S3_iS2_: ; @_Z24warp_load_guarded_kernelILj1024ELj4ELj1ELN6hipcub17WarpLoadAlgorithmE2EiEvPT3_S3_iS2_
; %bb.0:
	s_clause 0x1
	s_load_b128 s[4:7], s[0:1], 0x0
	s_load_b64 s[8:9], s[0:1], 0x10
	v_lshlrev_b32_e32 v1, 4, v0
	s_waitcnt lgkmcnt(0)
	s_delay_alu instid0(VALU_DEP_1) | instskip(NEXT) | instid1(VALU_DEP_1)
	v_add_co_u32 v5, s0, s4, v1
	v_add_co_ci_u32_e64 v6, null, s5, 0, s0
	s_mov_b32 s0, s9
	s_mov_b32 s1, s9
	;; [unrolled: 1-line block ×3, first 2 shown]
	s_cmp_eq_u32 s8, 0
	s_mov_b32 s3, s9
	s_cbranch_scc1 .LBB29_8
; %bb.1:
	global_load_b32 v7, v[5:6], off
	v_dual_mov_b32 v4, s3 :: v_dual_mov_b32 v3, s2
	v_dual_mov_b32 v2, s1 :: v_dual_mov_b32 v1, s0
	s_waitcnt vmcnt(0)
	v_mov_b32_e32 v1, v7
	s_cmp_lt_u32 s8, 2
	s_cbranch_scc1 .LBB29_3
.LBB29_2:
	global_load_b32 v2, v[5:6], off offset:4
.LBB29_3:
	v_lshlrev_b32_e32 v0, 2, v0
	s_cmp_lt_u32 s8, 3
	s_cbranch_scc0 .LBB29_6
; %bb.4:
	s_cmp_lt_u32 s8, 4
	s_cbranch_scc0 .LBB29_7
.LBB29_5:
	v_lshlrev_b32_e32 v0, 2, v0
	s_waitcnt vmcnt(0)
	global_store_b128 v0, v[1:4], s[6:7]
	s_nop 0
	s_sendmsg sendmsg(MSG_DEALLOC_VGPRS)
	s_endpgm
.LBB29_6:
	global_load_b32 v3, v[5:6], off offset:8
	s_cmp_lt_u32 s8, 4
	s_cbranch_scc1 .LBB29_5
.LBB29_7:
	global_load_b32 v4, v[5:6], off offset:12
	v_lshlrev_b32_e32 v0, 2, v0
	s_waitcnt vmcnt(0)
	global_store_b128 v0, v[1:4], s[6:7]
	s_nop 0
	s_sendmsg sendmsg(MSG_DEALLOC_VGPRS)
	s_endpgm
.LBB29_8:
	v_dual_mov_b32 v4, s3 :: v_dual_mov_b32 v3, s2
	v_dual_mov_b32 v2, s1 :: v_dual_mov_b32 v1, s0
	s_cmp_lt_u32 s8, 2
	s_cbranch_scc0 .LBB29_2
	s_branch .LBB29_3
	.section	.rodata,"a",@progbits
	.p2align	6, 0x0
	.amdhsa_kernel _Z24warp_load_guarded_kernelILj1024ELj4ELj1ELN6hipcub17WarpLoadAlgorithmE2EiEvPT3_S3_iS2_
		.amdhsa_group_segment_fixed_size 0
		.amdhsa_private_segment_fixed_size 0
		.amdhsa_kernarg_size 24
		.amdhsa_user_sgpr_count 15
		.amdhsa_user_sgpr_dispatch_ptr 0
		.amdhsa_user_sgpr_queue_ptr 0
		.amdhsa_user_sgpr_kernarg_segment_ptr 1
		.amdhsa_user_sgpr_dispatch_id 0
		.amdhsa_user_sgpr_private_segment_size 0
		.amdhsa_wavefront_size32 1
		.amdhsa_uses_dynamic_stack 0
		.amdhsa_enable_private_segment 0
		.amdhsa_system_sgpr_workgroup_id_x 1
		.amdhsa_system_sgpr_workgroup_id_y 0
		.amdhsa_system_sgpr_workgroup_id_z 0
		.amdhsa_system_sgpr_workgroup_info 0
		.amdhsa_system_vgpr_workitem_id 0
		.amdhsa_next_free_vgpr 8
		.amdhsa_next_free_sgpr 10
		.amdhsa_reserve_vcc 0
		.amdhsa_float_round_mode_32 0
		.amdhsa_float_round_mode_16_64 0
		.amdhsa_float_denorm_mode_32 3
		.amdhsa_float_denorm_mode_16_64 3
		.amdhsa_dx10_clamp 1
		.amdhsa_ieee_mode 1
		.amdhsa_fp16_overflow 0
		.amdhsa_workgroup_processor_mode 1
		.amdhsa_memory_ordered 1
		.amdhsa_forward_progress 0
		.amdhsa_shared_vgpr_count 0
		.amdhsa_exception_fp_ieee_invalid_op 0
		.amdhsa_exception_fp_denorm_src 0
		.amdhsa_exception_fp_ieee_div_zero 0
		.amdhsa_exception_fp_ieee_overflow 0
		.amdhsa_exception_fp_ieee_underflow 0
		.amdhsa_exception_fp_ieee_inexact 0
		.amdhsa_exception_int_div_zero 0
	.end_amdhsa_kernel
	.section	.text._Z24warp_load_guarded_kernelILj1024ELj4ELj1ELN6hipcub17WarpLoadAlgorithmE2EiEvPT3_S3_iS2_,"axG",@progbits,_Z24warp_load_guarded_kernelILj1024ELj4ELj1ELN6hipcub17WarpLoadAlgorithmE2EiEvPT3_S3_iS2_,comdat
.Lfunc_end29:
	.size	_Z24warp_load_guarded_kernelILj1024ELj4ELj1ELN6hipcub17WarpLoadAlgorithmE2EiEvPT3_S3_iS2_, .Lfunc_end29-_Z24warp_load_guarded_kernelILj1024ELj4ELj1ELN6hipcub17WarpLoadAlgorithmE2EiEvPT3_S3_iS2_
                                        ; -- End function
	.section	.AMDGPU.csdata,"",@progbits
; Kernel info:
; codeLenInByte = 248
; NumSgprs: 10
; NumVgprs: 8
; ScratchSize: 0
; MemoryBound: 0
; FloatMode: 240
; IeeeMode: 1
; LDSByteSize: 0 bytes/workgroup (compile time only)
; SGPRBlocks: 1
; VGPRBlocks: 0
; NumSGPRsForWavesPerEU: 10
; NumVGPRsForWavesPerEU: 8
; Occupancy: 16
; WaveLimiterHint : 0
; COMPUTE_PGM_RSRC2:SCRATCH_EN: 0
; COMPUTE_PGM_RSRC2:USER_SGPR: 15
; COMPUTE_PGM_RSRC2:TRAP_HANDLER: 0
; COMPUTE_PGM_RSRC2:TGID_X_EN: 1
; COMPUTE_PGM_RSRC2:TGID_Y_EN: 0
; COMPUTE_PGM_RSRC2:TGID_Z_EN: 0
; COMPUTE_PGM_RSRC2:TIDIG_COMP_CNT: 0
	.section	.text._Z24warp_load_guarded_kernelILj1024ELj4ELj1ELN6hipcub17WarpLoadAlgorithmE1EiEvPT3_S3_iS2_,"axG",@progbits,_Z24warp_load_guarded_kernelILj1024ELj4ELj1ELN6hipcub17WarpLoadAlgorithmE1EiEvPT3_S3_iS2_,comdat
	.protected	_Z24warp_load_guarded_kernelILj1024ELj4ELj1ELN6hipcub17WarpLoadAlgorithmE1EiEvPT3_S3_iS2_ ; -- Begin function _Z24warp_load_guarded_kernelILj1024ELj4ELj1ELN6hipcub17WarpLoadAlgorithmE1EiEvPT3_S3_iS2_
	.globl	_Z24warp_load_guarded_kernelILj1024ELj4ELj1ELN6hipcub17WarpLoadAlgorithmE1EiEvPT3_S3_iS2_
	.p2align	8
	.type	_Z24warp_load_guarded_kernelILj1024ELj4ELj1ELN6hipcub17WarpLoadAlgorithmE1EiEvPT3_S3_iS2_,@function
_Z24warp_load_guarded_kernelILj1024ELj4ELj1ELN6hipcub17WarpLoadAlgorithmE1EiEvPT3_S3_iS2_: ; @_Z24warp_load_guarded_kernelILj1024ELj4ELj1ELN6hipcub17WarpLoadAlgorithmE1EiEvPT3_S3_iS2_
; %bb.0:
	s_clause 0x1
	s_load_b128 s[4:7], s[0:1], 0x0
	s_load_b64 s[8:9], s[0:1], 0x10
	v_lshlrev_b32_e32 v1, 4, v0
	s_waitcnt lgkmcnt(0)
	s_delay_alu instid0(VALU_DEP_1) | instskip(NEXT) | instid1(VALU_DEP_1)
	v_add_co_u32 v5, s0, s4, v1
	v_add_co_ci_u32_e64 v6, null, s5, 0, s0
	s_mov_b32 s0, s9
	s_mov_b32 s1, s9
	s_mov_b32 s2, s9
	s_cmp_eq_u32 s8, 0
	s_mov_b32 s3, s9
	s_cbranch_scc1 .LBB30_8
; %bb.1:
	global_load_b32 v7, v[5:6], off
	v_dual_mov_b32 v4, s3 :: v_dual_mov_b32 v3, s2
	v_dual_mov_b32 v2, s1 :: v_dual_mov_b32 v1, s0
	s_waitcnt vmcnt(0)
	v_mov_b32_e32 v1, v7
	s_cmp_lt_u32 s8, 2
	s_cbranch_scc1 .LBB30_3
.LBB30_2:
	global_load_b32 v2, v[5:6], off offset:4
.LBB30_3:
	v_lshlrev_b32_e32 v0, 2, v0
	s_cmp_lt_u32 s8, 3
	s_cbranch_scc0 .LBB30_6
; %bb.4:
	s_cmp_lt_u32 s8, 4
	s_cbranch_scc0 .LBB30_7
.LBB30_5:
	v_lshlrev_b32_e32 v0, 2, v0
	s_waitcnt vmcnt(0)
	global_store_b128 v0, v[1:4], s[6:7]
	s_nop 0
	s_sendmsg sendmsg(MSG_DEALLOC_VGPRS)
	s_endpgm
.LBB30_6:
	global_load_b32 v3, v[5:6], off offset:8
	s_cmp_lt_u32 s8, 4
	s_cbranch_scc1 .LBB30_5
.LBB30_7:
	global_load_b32 v4, v[5:6], off offset:12
	v_lshlrev_b32_e32 v0, 2, v0
	s_waitcnt vmcnt(0)
	global_store_b128 v0, v[1:4], s[6:7]
	s_nop 0
	s_sendmsg sendmsg(MSG_DEALLOC_VGPRS)
	s_endpgm
.LBB30_8:
	v_dual_mov_b32 v4, s3 :: v_dual_mov_b32 v3, s2
	v_dual_mov_b32 v2, s1 :: v_dual_mov_b32 v1, s0
	s_cmp_lt_u32 s8, 2
	s_cbranch_scc0 .LBB30_2
	s_branch .LBB30_3
	.section	.rodata,"a",@progbits
	.p2align	6, 0x0
	.amdhsa_kernel _Z24warp_load_guarded_kernelILj1024ELj4ELj1ELN6hipcub17WarpLoadAlgorithmE1EiEvPT3_S3_iS2_
		.amdhsa_group_segment_fixed_size 0
		.amdhsa_private_segment_fixed_size 0
		.amdhsa_kernarg_size 24
		.amdhsa_user_sgpr_count 15
		.amdhsa_user_sgpr_dispatch_ptr 0
		.amdhsa_user_sgpr_queue_ptr 0
		.amdhsa_user_sgpr_kernarg_segment_ptr 1
		.amdhsa_user_sgpr_dispatch_id 0
		.amdhsa_user_sgpr_private_segment_size 0
		.amdhsa_wavefront_size32 1
		.amdhsa_uses_dynamic_stack 0
		.amdhsa_enable_private_segment 0
		.amdhsa_system_sgpr_workgroup_id_x 1
		.amdhsa_system_sgpr_workgroup_id_y 0
		.amdhsa_system_sgpr_workgroup_id_z 0
		.amdhsa_system_sgpr_workgroup_info 0
		.amdhsa_system_vgpr_workitem_id 0
		.amdhsa_next_free_vgpr 8
		.amdhsa_next_free_sgpr 10
		.amdhsa_reserve_vcc 0
		.amdhsa_float_round_mode_32 0
		.amdhsa_float_round_mode_16_64 0
		.amdhsa_float_denorm_mode_32 3
		.amdhsa_float_denorm_mode_16_64 3
		.amdhsa_dx10_clamp 1
		.amdhsa_ieee_mode 1
		.amdhsa_fp16_overflow 0
		.amdhsa_workgroup_processor_mode 1
		.amdhsa_memory_ordered 1
		.amdhsa_forward_progress 0
		.amdhsa_shared_vgpr_count 0
		.amdhsa_exception_fp_ieee_invalid_op 0
		.amdhsa_exception_fp_denorm_src 0
		.amdhsa_exception_fp_ieee_div_zero 0
		.amdhsa_exception_fp_ieee_overflow 0
		.amdhsa_exception_fp_ieee_underflow 0
		.amdhsa_exception_fp_ieee_inexact 0
		.amdhsa_exception_int_div_zero 0
	.end_amdhsa_kernel
	.section	.text._Z24warp_load_guarded_kernelILj1024ELj4ELj1ELN6hipcub17WarpLoadAlgorithmE1EiEvPT3_S3_iS2_,"axG",@progbits,_Z24warp_load_guarded_kernelILj1024ELj4ELj1ELN6hipcub17WarpLoadAlgorithmE1EiEvPT3_S3_iS2_,comdat
.Lfunc_end30:
	.size	_Z24warp_load_guarded_kernelILj1024ELj4ELj1ELN6hipcub17WarpLoadAlgorithmE1EiEvPT3_S3_iS2_, .Lfunc_end30-_Z24warp_load_guarded_kernelILj1024ELj4ELj1ELN6hipcub17WarpLoadAlgorithmE1EiEvPT3_S3_iS2_
                                        ; -- End function
	.section	.AMDGPU.csdata,"",@progbits
; Kernel info:
; codeLenInByte = 248
; NumSgprs: 10
; NumVgprs: 8
; ScratchSize: 0
; MemoryBound: 0
; FloatMode: 240
; IeeeMode: 1
; LDSByteSize: 0 bytes/workgroup (compile time only)
; SGPRBlocks: 1
; VGPRBlocks: 0
; NumSGPRsForWavesPerEU: 10
; NumVGPRsForWavesPerEU: 8
; Occupancy: 16
; WaveLimiterHint : 0
; COMPUTE_PGM_RSRC2:SCRATCH_EN: 0
; COMPUTE_PGM_RSRC2:USER_SGPR: 15
; COMPUTE_PGM_RSRC2:TRAP_HANDLER: 0
; COMPUTE_PGM_RSRC2:TGID_X_EN: 1
; COMPUTE_PGM_RSRC2:TGID_Y_EN: 0
; COMPUTE_PGM_RSRC2:TGID_Z_EN: 0
; COMPUTE_PGM_RSRC2:TIDIG_COMP_CNT: 0
	.section	.text._Z24warp_load_guarded_kernelILj1024ELj4ELj1ELN6hipcub17WarpLoadAlgorithmE0EiEvPT3_S3_iS2_,"axG",@progbits,_Z24warp_load_guarded_kernelILj1024ELj4ELj1ELN6hipcub17WarpLoadAlgorithmE0EiEvPT3_S3_iS2_,comdat
	.protected	_Z24warp_load_guarded_kernelILj1024ELj4ELj1ELN6hipcub17WarpLoadAlgorithmE0EiEvPT3_S3_iS2_ ; -- Begin function _Z24warp_load_guarded_kernelILj1024ELj4ELj1ELN6hipcub17WarpLoadAlgorithmE0EiEvPT3_S3_iS2_
	.globl	_Z24warp_load_guarded_kernelILj1024ELj4ELj1ELN6hipcub17WarpLoadAlgorithmE0EiEvPT3_S3_iS2_
	.p2align	8
	.type	_Z24warp_load_guarded_kernelILj1024ELj4ELj1ELN6hipcub17WarpLoadAlgorithmE0EiEvPT3_S3_iS2_,@function
_Z24warp_load_guarded_kernelILj1024ELj4ELj1ELN6hipcub17WarpLoadAlgorithmE0EiEvPT3_S3_iS2_: ; @_Z24warp_load_guarded_kernelILj1024ELj4ELj1ELN6hipcub17WarpLoadAlgorithmE0EiEvPT3_S3_iS2_
; %bb.0:
	s_clause 0x1
	s_load_b128 s[4:7], s[0:1], 0x0
	s_load_b64 s[8:9], s[0:1], 0x10
	v_lshlrev_b32_e32 v1, 4, v0
	s_waitcnt lgkmcnt(0)
	s_delay_alu instid0(VALU_DEP_1) | instskip(NEXT) | instid1(VALU_DEP_1)
	v_add_co_u32 v5, s0, s4, v1
	v_add_co_ci_u32_e64 v6, null, s5, 0, s0
	s_mov_b32 s0, s9
	s_mov_b32 s1, s9
	;; [unrolled: 1-line block ×3, first 2 shown]
	s_cmp_eq_u32 s8, 0
	s_mov_b32 s3, s9
	s_cbranch_scc1 .LBB31_8
; %bb.1:
	global_load_b32 v7, v[5:6], off
	v_dual_mov_b32 v4, s3 :: v_dual_mov_b32 v3, s2
	v_dual_mov_b32 v2, s1 :: v_dual_mov_b32 v1, s0
	s_waitcnt vmcnt(0)
	v_mov_b32_e32 v1, v7
	s_cmp_lt_u32 s8, 2
	s_cbranch_scc1 .LBB31_3
.LBB31_2:
	global_load_b32 v2, v[5:6], off offset:4
.LBB31_3:
	v_lshlrev_b32_e32 v0, 2, v0
	s_cmp_lt_u32 s8, 3
	s_cbranch_scc0 .LBB31_6
; %bb.4:
	s_cmp_lt_u32 s8, 4
	s_cbranch_scc0 .LBB31_7
.LBB31_5:
	v_lshlrev_b32_e32 v0, 2, v0
	s_waitcnt vmcnt(0)
	global_store_b128 v0, v[1:4], s[6:7]
	s_nop 0
	s_sendmsg sendmsg(MSG_DEALLOC_VGPRS)
	s_endpgm
.LBB31_6:
	global_load_b32 v3, v[5:6], off offset:8
	s_cmp_lt_u32 s8, 4
	s_cbranch_scc1 .LBB31_5
.LBB31_7:
	global_load_b32 v4, v[5:6], off offset:12
	v_lshlrev_b32_e32 v0, 2, v0
	s_waitcnt vmcnt(0)
	global_store_b128 v0, v[1:4], s[6:7]
	s_nop 0
	s_sendmsg sendmsg(MSG_DEALLOC_VGPRS)
	s_endpgm
.LBB31_8:
	v_dual_mov_b32 v4, s3 :: v_dual_mov_b32 v3, s2
	v_dual_mov_b32 v2, s1 :: v_dual_mov_b32 v1, s0
	s_cmp_lt_u32 s8, 2
	s_cbranch_scc0 .LBB31_2
	s_branch .LBB31_3
	.section	.rodata,"a",@progbits
	.p2align	6, 0x0
	.amdhsa_kernel _Z24warp_load_guarded_kernelILj1024ELj4ELj1ELN6hipcub17WarpLoadAlgorithmE0EiEvPT3_S3_iS2_
		.amdhsa_group_segment_fixed_size 0
		.amdhsa_private_segment_fixed_size 0
		.amdhsa_kernarg_size 24
		.amdhsa_user_sgpr_count 15
		.amdhsa_user_sgpr_dispatch_ptr 0
		.amdhsa_user_sgpr_queue_ptr 0
		.amdhsa_user_sgpr_kernarg_segment_ptr 1
		.amdhsa_user_sgpr_dispatch_id 0
		.amdhsa_user_sgpr_private_segment_size 0
		.amdhsa_wavefront_size32 1
		.amdhsa_uses_dynamic_stack 0
		.amdhsa_enable_private_segment 0
		.amdhsa_system_sgpr_workgroup_id_x 1
		.amdhsa_system_sgpr_workgroup_id_y 0
		.amdhsa_system_sgpr_workgroup_id_z 0
		.amdhsa_system_sgpr_workgroup_info 0
		.amdhsa_system_vgpr_workitem_id 0
		.amdhsa_next_free_vgpr 8
		.amdhsa_next_free_sgpr 10
		.amdhsa_reserve_vcc 0
		.amdhsa_float_round_mode_32 0
		.amdhsa_float_round_mode_16_64 0
		.amdhsa_float_denorm_mode_32 3
		.amdhsa_float_denorm_mode_16_64 3
		.amdhsa_dx10_clamp 1
		.amdhsa_ieee_mode 1
		.amdhsa_fp16_overflow 0
		.amdhsa_workgroup_processor_mode 1
		.amdhsa_memory_ordered 1
		.amdhsa_forward_progress 0
		.amdhsa_shared_vgpr_count 0
		.amdhsa_exception_fp_ieee_invalid_op 0
		.amdhsa_exception_fp_denorm_src 0
		.amdhsa_exception_fp_ieee_div_zero 0
		.amdhsa_exception_fp_ieee_overflow 0
		.amdhsa_exception_fp_ieee_underflow 0
		.amdhsa_exception_fp_ieee_inexact 0
		.amdhsa_exception_int_div_zero 0
	.end_amdhsa_kernel
	.section	.text._Z24warp_load_guarded_kernelILj1024ELj4ELj1ELN6hipcub17WarpLoadAlgorithmE0EiEvPT3_S3_iS2_,"axG",@progbits,_Z24warp_load_guarded_kernelILj1024ELj4ELj1ELN6hipcub17WarpLoadAlgorithmE0EiEvPT3_S3_iS2_,comdat
.Lfunc_end31:
	.size	_Z24warp_load_guarded_kernelILj1024ELj4ELj1ELN6hipcub17WarpLoadAlgorithmE0EiEvPT3_S3_iS2_, .Lfunc_end31-_Z24warp_load_guarded_kernelILj1024ELj4ELj1ELN6hipcub17WarpLoadAlgorithmE0EiEvPT3_S3_iS2_
                                        ; -- End function
	.section	.AMDGPU.csdata,"",@progbits
; Kernel info:
; codeLenInByte = 248
; NumSgprs: 10
; NumVgprs: 8
; ScratchSize: 0
; MemoryBound: 0
; FloatMode: 240
; IeeeMode: 1
; LDSByteSize: 0 bytes/workgroup (compile time only)
; SGPRBlocks: 1
; VGPRBlocks: 0
; NumSGPRsForWavesPerEU: 10
; NumVGPRsForWavesPerEU: 8
; Occupancy: 16
; WaveLimiterHint : 0
; COMPUTE_PGM_RSRC2:SCRATCH_EN: 0
; COMPUTE_PGM_RSRC2:USER_SGPR: 15
; COMPUTE_PGM_RSRC2:TRAP_HANDLER: 0
; COMPUTE_PGM_RSRC2:TGID_X_EN: 1
; COMPUTE_PGM_RSRC2:TGID_Y_EN: 0
; COMPUTE_PGM_RSRC2:TGID_Z_EN: 0
; COMPUTE_PGM_RSRC2:TIDIG_COMP_CNT: 0
	.text
	.p2alignl 7, 3214868480
	.fill 96, 4, 3214868480
	.type	__hip_cuid_a9d32140e0eda96b,@object ; @__hip_cuid_a9d32140e0eda96b
	.section	.bss,"aw",@nobits
	.globl	__hip_cuid_a9d32140e0eda96b
__hip_cuid_a9d32140e0eda96b:
	.byte	0                               ; 0x0
	.size	__hip_cuid_a9d32140e0eda96b, 1

	.ident	"AMD clang version 19.0.0git (https://github.com/RadeonOpenCompute/llvm-project roc-6.4.0 25133 c7fe45cf4b819c5991fe208aaa96edf142730f1d)"
	.section	".note.GNU-stack","",@progbits
	.addrsig
	.addrsig_sym __hip_cuid_a9d32140e0eda96b
	.amdgpu_metadata
---
amdhsa.kernels:
  - .args:
      - .address_space:  global
        .offset:         0
        .size:           8
        .value_kind:     global_buffer
      - .address_space:  global
        .offset:         8
        .size:           8
        .value_kind:     global_buffer
    .group_segment_fixed_size: 0
    .kernarg_segment_align: 8
    .kernarg_segment_size: 16
    .language:       OpenCL C
    .language_version:
      - 2
      - 0
    .max_flat_workgroup_size: 1024
    .name:           _Z16warp_load_kernelILj1024ELj4ELj64ELN6hipcub17WarpLoadAlgorithmE3EiEvPT3_S3_
    .private_segment_fixed_size: 0
    .sgpr_count:     0
    .sgpr_spill_count: 0
    .symbol:         _Z16warp_load_kernelILj1024ELj4ELj64ELN6hipcub17WarpLoadAlgorithmE3EiEvPT3_S3_.kd
    .uniform_work_group_size: 1
    .uses_dynamic_stack: false
    .vgpr_count:     0
    .vgpr_spill_count: 0
    .wavefront_size: 32
    .workgroup_processor_mode: 1
  - .args:
      - .address_space:  global
        .offset:         0
        .size:           8
        .value_kind:     global_buffer
      - .address_space:  global
        .offset:         8
        .size:           8
        .value_kind:     global_buffer
    .group_segment_fixed_size: 0
    .kernarg_segment_align: 8
    .kernarg_segment_size: 16
    .language:       OpenCL C
    .language_version:
      - 2
      - 0
    .max_flat_workgroup_size: 1024
    .name:           _Z16warp_load_kernelILj1024ELj4ELj64ELN6hipcub17WarpLoadAlgorithmE2EiEvPT3_S3_
    .private_segment_fixed_size: 0
    .sgpr_count:     0
    .sgpr_spill_count: 0
    .symbol:         _Z16warp_load_kernelILj1024ELj4ELj64ELN6hipcub17WarpLoadAlgorithmE2EiEvPT3_S3_.kd
    .uniform_work_group_size: 1
    .uses_dynamic_stack: false
    .vgpr_count:     0
    .vgpr_spill_count: 0
    .wavefront_size: 32
    .workgroup_processor_mode: 1
  - .args:
      - .address_space:  global
        .offset:         0
        .size:           8
        .value_kind:     global_buffer
      - .address_space:  global
        .offset:         8
        .size:           8
        .value_kind:     global_buffer
    .group_segment_fixed_size: 0
    .kernarg_segment_align: 8
    .kernarg_segment_size: 16
    .language:       OpenCL C
    .language_version:
      - 2
      - 0
    .max_flat_workgroup_size: 1024
    .name:           _Z16warp_load_kernelILj1024ELj4ELj64ELN6hipcub17WarpLoadAlgorithmE1EiEvPT3_S3_
    .private_segment_fixed_size: 0
    .sgpr_count:     0
    .sgpr_spill_count: 0
    .symbol:         _Z16warp_load_kernelILj1024ELj4ELj64ELN6hipcub17WarpLoadAlgorithmE1EiEvPT3_S3_.kd
    .uniform_work_group_size: 1
    .uses_dynamic_stack: false
    .vgpr_count:     0
    .vgpr_spill_count: 0
    .wavefront_size: 32
    .workgroup_processor_mode: 1
  - .args:
      - .address_space:  global
        .offset:         0
        .size:           8
        .value_kind:     global_buffer
      - .address_space:  global
        .offset:         8
        .size:           8
        .value_kind:     global_buffer
    .group_segment_fixed_size: 0
    .kernarg_segment_align: 8
    .kernarg_segment_size: 16
    .language:       OpenCL C
    .language_version:
      - 2
      - 0
    .max_flat_workgroup_size: 1024
    .name:           _Z16warp_load_kernelILj1024ELj4ELj64ELN6hipcub17WarpLoadAlgorithmE0EiEvPT3_S3_
    .private_segment_fixed_size: 0
    .sgpr_count:     0
    .sgpr_spill_count: 0
    .symbol:         _Z16warp_load_kernelILj1024ELj4ELj64ELN6hipcub17WarpLoadAlgorithmE0EiEvPT3_S3_.kd
    .uniform_work_group_size: 1
    .uses_dynamic_stack: false
    .vgpr_count:     0
    .vgpr_spill_count: 0
    .wavefront_size: 32
    .workgroup_processor_mode: 1
  - .args:
      - .address_space:  global
        .offset:         0
        .size:           8
        .value_kind:     global_buffer
      - .address_space:  global
        .offset:         8
        .size:           8
        .value_kind:     global_buffer
    .group_segment_fixed_size: 16384
    .kernarg_segment_align: 8
    .kernarg_segment_size: 16
    .language:       OpenCL C
    .language_version:
      - 2
      - 0
    .max_flat_workgroup_size: 1024
    .name:           _Z16warp_load_kernelILj1024ELj4ELj32ELN6hipcub17WarpLoadAlgorithmE3EiEvPT3_S3_
    .private_segment_fixed_size: 0
    .sgpr_count:     6
    .sgpr_spill_count: 0
    .symbol:         _Z16warp_load_kernelILj1024ELj4ELj32ELN6hipcub17WarpLoadAlgorithmE3EiEvPT3_S3_.kd
    .uniform_work_group_size: 1
    .uses_dynamic_stack: false
    .vgpr_count:     9
    .vgpr_spill_count: 0
    .wavefront_size: 32
    .workgroup_processor_mode: 1
  - .args:
      - .address_space:  global
        .offset:         0
        .size:           8
        .value_kind:     global_buffer
      - .address_space:  global
        .offset:         8
        .size:           8
        .value_kind:     global_buffer
    .group_segment_fixed_size: 0
    .kernarg_segment_align: 8
    .kernarg_segment_size: 16
    .language:       OpenCL C
    .language_version:
      - 2
      - 0
    .max_flat_workgroup_size: 1024
    .name:           _Z16warp_load_kernelILj1024ELj4ELj32ELN6hipcub17WarpLoadAlgorithmE2EiEvPT3_S3_
    .private_segment_fixed_size: 0
    .sgpr_count:     6
    .sgpr_spill_count: 0
    .symbol:         _Z16warp_load_kernelILj1024ELj4ELj32ELN6hipcub17WarpLoadAlgorithmE2EiEvPT3_S3_.kd
    .uniform_work_group_size: 1
    .uses_dynamic_stack: false
    .vgpr_count:     5
    .vgpr_spill_count: 0
    .wavefront_size: 32
    .workgroup_processor_mode: 1
  - .args:
      - .address_space:  global
        .offset:         0
        .size:           8
        .value_kind:     global_buffer
      - .address_space:  global
        .offset:         8
        .size:           8
        .value_kind:     global_buffer
    .group_segment_fixed_size: 0
    .kernarg_segment_align: 8
    .kernarg_segment_size: 16
    .language:       OpenCL C
    .language_version:
      - 2
      - 0
    .max_flat_workgroup_size: 1024
    .name:           _Z16warp_load_kernelILj1024ELj4ELj32ELN6hipcub17WarpLoadAlgorithmE1EiEvPT3_S3_
    .private_segment_fixed_size: 0
    .sgpr_count:     6
    .sgpr_spill_count: 0
    .symbol:         _Z16warp_load_kernelILj1024ELj4ELj32ELN6hipcub17WarpLoadAlgorithmE1EiEvPT3_S3_.kd
    .uniform_work_group_size: 1
    .uses_dynamic_stack: false
    .vgpr_count:     6
    .vgpr_spill_count: 0
    .wavefront_size: 32
    .workgroup_processor_mode: 1
  - .args:
      - .address_space:  global
        .offset:         0
        .size:           8
        .value_kind:     global_buffer
      - .address_space:  global
        .offset:         8
        .size:           8
        .value_kind:     global_buffer
    .group_segment_fixed_size: 0
    .kernarg_segment_align: 8
    .kernarg_segment_size: 16
    .language:       OpenCL C
    .language_version:
      - 2
      - 0
    .max_flat_workgroup_size: 1024
    .name:           _Z16warp_load_kernelILj1024ELj4ELj32ELN6hipcub17WarpLoadAlgorithmE0EiEvPT3_S3_
    .private_segment_fixed_size: 0
    .sgpr_count:     6
    .sgpr_spill_count: 0
    .symbol:         _Z16warp_load_kernelILj1024ELj4ELj32ELN6hipcub17WarpLoadAlgorithmE0EiEvPT3_S3_.kd
    .uniform_work_group_size: 1
    .uses_dynamic_stack: false
    .vgpr_count:     5
    .vgpr_spill_count: 0
    .wavefront_size: 32
    .workgroup_processor_mode: 1
  - .args:
      - .address_space:  global
        .offset:         0
        .size:           8
        .value_kind:     global_buffer
      - .address_space:  global
        .offset:         8
        .size:           8
        .value_kind:     global_buffer
    .group_segment_fixed_size: 16384
    .kernarg_segment_align: 8
    .kernarg_segment_size: 16
    .language:       OpenCL C
    .language_version:
      - 2
      - 0
    .max_flat_workgroup_size: 1024
    .name:           _Z16warp_load_kernelILj1024ELj4ELj16ELN6hipcub17WarpLoadAlgorithmE3EiEvPT3_S3_
    .private_segment_fixed_size: 0
    .sgpr_count:     6
    .sgpr_spill_count: 0
    .symbol:         _Z16warp_load_kernelILj1024ELj4ELj16ELN6hipcub17WarpLoadAlgorithmE3EiEvPT3_S3_.kd
    .uniform_work_group_size: 1
    .uses_dynamic_stack: false
    .vgpr_count:     9
    .vgpr_spill_count: 0
    .wavefront_size: 32
    .workgroup_processor_mode: 1
  - .args:
      - .address_space:  global
        .offset:         0
        .size:           8
        .value_kind:     global_buffer
      - .address_space:  global
        .offset:         8
        .size:           8
        .value_kind:     global_buffer
    .group_segment_fixed_size: 0
    .kernarg_segment_align: 8
    .kernarg_segment_size: 16
    .language:       OpenCL C
    .language_version:
      - 2
      - 0
    .max_flat_workgroup_size: 1024
    .name:           _Z16warp_load_kernelILj1024ELj4ELj16ELN6hipcub17WarpLoadAlgorithmE2EiEvPT3_S3_
    .private_segment_fixed_size: 0
    .sgpr_count:     6
    .sgpr_spill_count: 0
    .symbol:         _Z16warp_load_kernelILj1024ELj4ELj16ELN6hipcub17WarpLoadAlgorithmE2EiEvPT3_S3_.kd
    .uniform_work_group_size: 1
    .uses_dynamic_stack: false
    .vgpr_count:     5
    .vgpr_spill_count: 0
    .wavefront_size: 32
    .workgroup_processor_mode: 1
  - .args:
      - .address_space:  global
        .offset:         0
        .size:           8
        .value_kind:     global_buffer
      - .address_space:  global
        .offset:         8
        .size:           8
        .value_kind:     global_buffer
    .group_segment_fixed_size: 0
    .kernarg_segment_align: 8
    .kernarg_segment_size: 16
    .language:       OpenCL C
    .language_version:
      - 2
      - 0
    .max_flat_workgroup_size: 1024
    .name:           _Z16warp_load_kernelILj1024ELj4ELj16ELN6hipcub17WarpLoadAlgorithmE1EiEvPT3_S3_
    .private_segment_fixed_size: 0
    .sgpr_count:     6
    .sgpr_spill_count: 0
    .symbol:         _Z16warp_load_kernelILj1024ELj4ELj16ELN6hipcub17WarpLoadAlgorithmE1EiEvPT3_S3_.kd
    .uniform_work_group_size: 1
    .uses_dynamic_stack: false
    .vgpr_count:     6
    .vgpr_spill_count: 0
    .wavefront_size: 32
    .workgroup_processor_mode: 1
  - .args:
      - .address_space:  global
        .offset:         0
        .size:           8
        .value_kind:     global_buffer
      - .address_space:  global
        .offset:         8
        .size:           8
        .value_kind:     global_buffer
    .group_segment_fixed_size: 0
    .kernarg_segment_align: 8
    .kernarg_segment_size: 16
    .language:       OpenCL C
    .language_version:
      - 2
      - 0
    .max_flat_workgroup_size: 1024
    .name:           _Z16warp_load_kernelILj1024ELj4ELj16ELN6hipcub17WarpLoadAlgorithmE0EiEvPT3_S3_
    .private_segment_fixed_size: 0
    .sgpr_count:     6
    .sgpr_spill_count: 0
    .symbol:         _Z16warp_load_kernelILj1024ELj4ELj16ELN6hipcub17WarpLoadAlgorithmE0EiEvPT3_S3_.kd
    .uniform_work_group_size: 1
    .uses_dynamic_stack: false
    .vgpr_count:     5
    .vgpr_spill_count: 0
    .wavefront_size: 32
    .workgroup_processor_mode: 1
  - .args:
      - .address_space:  global
        .offset:         0
        .size:           8
        .value_kind:     global_buffer
      - .address_space:  global
        .offset:         8
        .size:           8
        .value_kind:     global_buffer
    .group_segment_fixed_size: 16384
    .kernarg_segment_align: 8
    .kernarg_segment_size: 16
    .language:       OpenCL C
    .language_version:
      - 2
      - 0
    .max_flat_workgroup_size: 1024
    .name:           _Z16warp_load_kernelILj1024ELj4ELj1ELN6hipcub17WarpLoadAlgorithmE3EiEvPT3_S3_
    .private_segment_fixed_size: 0
    .sgpr_count:     4
    .sgpr_spill_count: 0
    .symbol:         _Z16warp_load_kernelILj1024ELj4ELj1ELN6hipcub17WarpLoadAlgorithmE3EiEvPT3_S3_.kd
    .uniform_work_group_size: 1
    .uses_dynamic_stack: false
    .vgpr_count:     5
    .vgpr_spill_count: 0
    .wavefront_size: 32
    .workgroup_processor_mode: 1
  - .args:
      - .address_space:  global
        .offset:         0
        .size:           8
        .value_kind:     global_buffer
      - .address_space:  global
        .offset:         8
        .size:           8
        .value_kind:     global_buffer
    .group_segment_fixed_size: 0
    .kernarg_segment_align: 8
    .kernarg_segment_size: 16
    .language:       OpenCL C
    .language_version:
      - 2
      - 0
    .max_flat_workgroup_size: 1024
    .name:           _Z16warp_load_kernelILj1024ELj4ELj1ELN6hipcub17WarpLoadAlgorithmE2EiEvPT3_S3_
    .private_segment_fixed_size: 0
    .sgpr_count:     4
    .sgpr_spill_count: 0
    .symbol:         _Z16warp_load_kernelILj1024ELj4ELj1ELN6hipcub17WarpLoadAlgorithmE2EiEvPT3_S3_.kd
    .uniform_work_group_size: 1
    .uses_dynamic_stack: false
    .vgpr_count:     5
    .vgpr_spill_count: 0
    .wavefront_size: 32
    .workgroup_processor_mode: 1
  - .args:
      - .address_space:  global
        .offset:         0
        .size:           8
        .value_kind:     global_buffer
      - .address_space:  global
        .offset:         8
        .size:           8
        .value_kind:     global_buffer
    .group_segment_fixed_size: 0
    .kernarg_segment_align: 8
    .kernarg_segment_size: 16
    .language:       OpenCL C
    .language_version:
      - 2
      - 0
    .max_flat_workgroup_size: 1024
    .name:           _Z16warp_load_kernelILj1024ELj4ELj1ELN6hipcub17WarpLoadAlgorithmE1EiEvPT3_S3_
    .private_segment_fixed_size: 0
    .sgpr_count:     4
    .sgpr_spill_count: 0
    .symbol:         _Z16warp_load_kernelILj1024ELj4ELj1ELN6hipcub17WarpLoadAlgorithmE1EiEvPT3_S3_.kd
    .uniform_work_group_size: 1
    .uses_dynamic_stack: false
    .vgpr_count:     5
    .vgpr_spill_count: 0
    .wavefront_size: 32
    .workgroup_processor_mode: 1
  - .args:
      - .address_space:  global
        .offset:         0
        .size:           8
        .value_kind:     global_buffer
      - .address_space:  global
        .offset:         8
        .size:           8
        .value_kind:     global_buffer
    .group_segment_fixed_size: 0
    .kernarg_segment_align: 8
    .kernarg_segment_size: 16
    .language:       OpenCL C
    .language_version:
      - 2
      - 0
    .max_flat_workgroup_size: 1024
    .name:           _Z16warp_load_kernelILj1024ELj4ELj1ELN6hipcub17WarpLoadAlgorithmE0EiEvPT3_S3_
    .private_segment_fixed_size: 0
    .sgpr_count:     4
    .sgpr_spill_count: 0
    .symbol:         _Z16warp_load_kernelILj1024ELj4ELj1ELN6hipcub17WarpLoadAlgorithmE0EiEvPT3_S3_.kd
    .uniform_work_group_size: 1
    .uses_dynamic_stack: false
    .vgpr_count:     5
    .vgpr_spill_count: 0
    .wavefront_size: 32
    .workgroup_processor_mode: 1
  - .args:
      - .address_space:  global
        .offset:         0
        .size:           8
        .value_kind:     global_buffer
      - .address_space:  global
        .offset:         8
        .size:           8
        .value_kind:     global_buffer
      - .offset:         16
        .size:           4
        .value_kind:     by_value
      - .offset:         20
        .size:           4
        .value_kind:     by_value
    .group_segment_fixed_size: 0
    .kernarg_segment_align: 8
    .kernarg_segment_size: 24
    .language:       OpenCL C
    .language_version:
      - 2
      - 0
    .max_flat_workgroup_size: 1024
    .name:           _Z24warp_load_guarded_kernelILj1024ELj4ELj64ELN6hipcub17WarpLoadAlgorithmE3EiEvPT3_S3_iS2_
    .private_segment_fixed_size: 0
    .sgpr_count:     0
    .sgpr_spill_count: 0
    .symbol:         _Z24warp_load_guarded_kernelILj1024ELj4ELj64ELN6hipcub17WarpLoadAlgorithmE3EiEvPT3_S3_iS2_.kd
    .uniform_work_group_size: 1
    .uses_dynamic_stack: false
    .vgpr_count:     0
    .vgpr_spill_count: 0
    .wavefront_size: 32
    .workgroup_processor_mode: 1
  - .args:
      - .address_space:  global
        .offset:         0
        .size:           8
        .value_kind:     global_buffer
      - .address_space:  global
        .offset:         8
        .size:           8
        .value_kind:     global_buffer
      - .offset:         16
        .size:           4
        .value_kind:     by_value
      - .offset:         20
        .size:           4
        .value_kind:     by_value
    .group_segment_fixed_size: 0
    .kernarg_segment_align: 8
    .kernarg_segment_size: 24
    .language:       OpenCL C
    .language_version:
      - 2
      - 0
    .max_flat_workgroup_size: 1024
    .name:           _Z24warp_load_guarded_kernelILj1024ELj4ELj64ELN6hipcub17WarpLoadAlgorithmE2EiEvPT3_S3_iS2_
    .private_segment_fixed_size: 0
    .sgpr_count:     0
    .sgpr_spill_count: 0
    .symbol:         _Z24warp_load_guarded_kernelILj1024ELj4ELj64ELN6hipcub17WarpLoadAlgorithmE2EiEvPT3_S3_iS2_.kd
    .uniform_work_group_size: 1
    .uses_dynamic_stack: false
    .vgpr_count:     0
    .vgpr_spill_count: 0
    .wavefront_size: 32
    .workgroup_processor_mode: 1
  - .args:
      - .address_space:  global
        .offset:         0
        .size:           8
        .value_kind:     global_buffer
      - .address_space:  global
        .offset:         8
        .size:           8
        .value_kind:     global_buffer
      - .offset:         16
        .size:           4
        .value_kind:     by_value
      - .offset:         20
        .size:           4
        .value_kind:     by_value
    .group_segment_fixed_size: 0
    .kernarg_segment_align: 8
    .kernarg_segment_size: 24
    .language:       OpenCL C
    .language_version:
      - 2
      - 0
    .max_flat_workgroup_size: 1024
    .name:           _Z24warp_load_guarded_kernelILj1024ELj4ELj64ELN6hipcub17WarpLoadAlgorithmE1EiEvPT3_S3_iS2_
    .private_segment_fixed_size: 0
    .sgpr_count:     0
    .sgpr_spill_count: 0
    .symbol:         _Z24warp_load_guarded_kernelILj1024ELj4ELj64ELN6hipcub17WarpLoadAlgorithmE1EiEvPT3_S3_iS2_.kd
    .uniform_work_group_size: 1
    .uses_dynamic_stack: false
    .vgpr_count:     0
    .vgpr_spill_count: 0
    .wavefront_size: 32
    .workgroup_processor_mode: 1
  - .args:
      - .address_space:  global
        .offset:         0
        .size:           8
        .value_kind:     global_buffer
      - .address_space:  global
        .offset:         8
        .size:           8
        .value_kind:     global_buffer
      - .offset:         16
        .size:           4
        .value_kind:     by_value
      - .offset:         20
        .size:           4
        .value_kind:     by_value
    .group_segment_fixed_size: 0
    .kernarg_segment_align: 8
    .kernarg_segment_size: 24
    .language:       OpenCL C
    .language_version:
      - 2
      - 0
    .max_flat_workgroup_size: 1024
    .name:           _Z24warp_load_guarded_kernelILj1024ELj4ELj64ELN6hipcub17WarpLoadAlgorithmE0EiEvPT3_S3_iS2_
    .private_segment_fixed_size: 0
    .sgpr_count:     0
    .sgpr_spill_count: 0
    .symbol:         _Z24warp_load_guarded_kernelILj1024ELj4ELj64ELN6hipcub17WarpLoadAlgorithmE0EiEvPT3_S3_iS2_.kd
    .uniform_work_group_size: 1
    .uses_dynamic_stack: false
    .vgpr_count:     0
    .vgpr_spill_count: 0
    .wavefront_size: 32
    .workgroup_processor_mode: 1
  - .args:
      - .address_space:  global
        .offset:         0
        .size:           8
        .value_kind:     global_buffer
      - .address_space:  global
        .offset:         8
        .size:           8
        .value_kind:     global_buffer
      - .offset:         16
        .size:           4
        .value_kind:     by_value
      - .offset:         20
        .size:           4
        .value_kind:     by_value
    .group_segment_fixed_size: 16384
    .kernarg_segment_align: 8
    .kernarg_segment_size: 24
    .language:       OpenCL C
    .language_version:
      - 2
      - 0
    .max_flat_workgroup_size: 1024
    .name:           _Z24warp_load_guarded_kernelILj1024ELj4ELj32ELN6hipcub17WarpLoadAlgorithmE3EiEvPT3_S3_iS2_
    .private_segment_fixed_size: 0
    .sgpr_count:     12
    .sgpr_spill_count: 0
    .symbol:         _Z24warp_load_guarded_kernelILj1024ELj4ELj32ELN6hipcub17WarpLoadAlgorithmE3EiEvPT3_S3_iS2_.kd
    .uniform_work_group_size: 1
    .uses_dynamic_stack: false
    .vgpr_count:     11
    .vgpr_spill_count: 0
    .wavefront_size: 32
    .workgroup_processor_mode: 1
  - .args:
      - .address_space:  global
        .offset:         0
        .size:           8
        .value_kind:     global_buffer
      - .address_space:  global
        .offset:         8
        .size:           8
        .value_kind:     global_buffer
      - .offset:         16
        .size:           4
        .value_kind:     by_value
      - .offset:         20
        .size:           4
        .value_kind:     by_value
    .group_segment_fixed_size: 0
    .kernarg_segment_align: 8
    .kernarg_segment_size: 24
    .language:       OpenCL C
    .language_version:
      - 2
      - 0
    .max_flat_workgroup_size: 1024
    .name:           _Z24warp_load_guarded_kernelILj1024ELj4ELj32ELN6hipcub17WarpLoadAlgorithmE2EiEvPT3_S3_iS2_
    .private_segment_fixed_size: 0
    .sgpr_count:     12
    .sgpr_spill_count: 0
    .symbol:         _Z24warp_load_guarded_kernelILj1024ELj4ELj32ELN6hipcub17WarpLoadAlgorithmE2EiEvPT3_S3_iS2_.kd
    .uniform_work_group_size: 1
    .uses_dynamic_stack: false
    .vgpr_count:     9
    .vgpr_spill_count: 0
    .wavefront_size: 32
    .workgroup_processor_mode: 1
  - .args:
      - .address_space:  global
        .offset:         0
        .size:           8
        .value_kind:     global_buffer
      - .address_space:  global
        .offset:         8
        .size:           8
        .value_kind:     global_buffer
      - .offset:         16
        .size:           4
        .value_kind:     by_value
      - .offset:         20
        .size:           4
        .value_kind:     by_value
    .group_segment_fixed_size: 0
    .kernarg_segment_align: 8
    .kernarg_segment_size: 24
    .language:       OpenCL C
    .language_version:
      - 2
      - 0
    .max_flat_workgroup_size: 1024
    .name:           _Z24warp_load_guarded_kernelILj1024ELj4ELj32ELN6hipcub17WarpLoadAlgorithmE1EiEvPT3_S3_iS2_
    .private_segment_fixed_size: 0
    .sgpr_count:     12
    .sgpr_spill_count: 0
    .symbol:         _Z24warp_load_guarded_kernelILj1024ELj4ELj32ELN6hipcub17WarpLoadAlgorithmE1EiEvPT3_S3_iS2_.kd
    .uniform_work_group_size: 1
    .uses_dynamic_stack: false
    .vgpr_count:     9
    .vgpr_spill_count: 0
    .wavefront_size: 32
    .workgroup_processor_mode: 1
  - .args:
      - .address_space:  global
        .offset:         0
        .size:           8
        .value_kind:     global_buffer
      - .address_space:  global
        .offset:         8
        .size:           8
        .value_kind:     global_buffer
      - .offset:         16
        .size:           4
        .value_kind:     by_value
      - .offset:         20
        .size:           4
        .value_kind:     by_value
    .group_segment_fixed_size: 0
    .kernarg_segment_align: 8
    .kernarg_segment_size: 24
    .language:       OpenCL C
    .language_version:
      - 2
      - 0
    .max_flat_workgroup_size: 1024
    .name:           _Z24warp_load_guarded_kernelILj1024ELj4ELj32ELN6hipcub17WarpLoadAlgorithmE0EiEvPT3_S3_iS2_
    .private_segment_fixed_size: 0
    .sgpr_count:     12
    .sgpr_spill_count: 0
    .symbol:         _Z24warp_load_guarded_kernelILj1024ELj4ELj32ELN6hipcub17WarpLoadAlgorithmE0EiEvPT3_S3_iS2_.kd
    .uniform_work_group_size: 1
    .uses_dynamic_stack: false
    .vgpr_count:     9
    .vgpr_spill_count: 0
    .wavefront_size: 32
    .workgroup_processor_mode: 1
  - .args:
      - .address_space:  global
        .offset:         0
        .size:           8
        .value_kind:     global_buffer
      - .address_space:  global
        .offset:         8
        .size:           8
        .value_kind:     global_buffer
      - .offset:         16
        .size:           4
        .value_kind:     by_value
      - .offset:         20
        .size:           4
        .value_kind:     by_value
    .group_segment_fixed_size: 16384
    .kernarg_segment_align: 8
    .kernarg_segment_size: 24
    .language:       OpenCL C
    .language_version:
      - 2
      - 0
    .max_flat_workgroup_size: 1024
    .name:           _Z24warp_load_guarded_kernelILj1024ELj4ELj16ELN6hipcub17WarpLoadAlgorithmE3EiEvPT3_S3_iS2_
    .private_segment_fixed_size: 0
    .sgpr_count:     12
    .sgpr_spill_count: 0
    .symbol:         _Z24warp_load_guarded_kernelILj1024ELj4ELj16ELN6hipcub17WarpLoadAlgorithmE3EiEvPT3_S3_iS2_.kd
    .uniform_work_group_size: 1
    .uses_dynamic_stack: false
    .vgpr_count:     11
    .vgpr_spill_count: 0
    .wavefront_size: 32
    .workgroup_processor_mode: 1
  - .args:
      - .address_space:  global
        .offset:         0
        .size:           8
        .value_kind:     global_buffer
      - .address_space:  global
        .offset:         8
        .size:           8
        .value_kind:     global_buffer
      - .offset:         16
        .size:           4
        .value_kind:     by_value
      - .offset:         20
        .size:           4
        .value_kind:     by_value
    .group_segment_fixed_size: 0
    .kernarg_segment_align: 8
    .kernarg_segment_size: 24
    .language:       OpenCL C
    .language_version:
      - 2
      - 0
    .max_flat_workgroup_size: 1024
    .name:           _Z24warp_load_guarded_kernelILj1024ELj4ELj16ELN6hipcub17WarpLoadAlgorithmE2EiEvPT3_S3_iS2_
    .private_segment_fixed_size: 0
    .sgpr_count:     12
    .sgpr_spill_count: 0
    .symbol:         _Z24warp_load_guarded_kernelILj1024ELj4ELj16ELN6hipcub17WarpLoadAlgorithmE2EiEvPT3_S3_iS2_.kd
    .uniform_work_group_size: 1
    .uses_dynamic_stack: false
    .vgpr_count:     9
    .vgpr_spill_count: 0
    .wavefront_size: 32
    .workgroup_processor_mode: 1
  - .args:
      - .address_space:  global
        .offset:         0
        .size:           8
        .value_kind:     global_buffer
      - .address_space:  global
        .offset:         8
        .size:           8
        .value_kind:     global_buffer
      - .offset:         16
        .size:           4
        .value_kind:     by_value
      - .offset:         20
        .size:           4
        .value_kind:     by_value
    .group_segment_fixed_size: 0
    .kernarg_segment_align: 8
    .kernarg_segment_size: 24
    .language:       OpenCL C
    .language_version:
      - 2
      - 0
    .max_flat_workgroup_size: 1024
    .name:           _Z24warp_load_guarded_kernelILj1024ELj4ELj16ELN6hipcub17WarpLoadAlgorithmE1EiEvPT3_S3_iS2_
    .private_segment_fixed_size: 0
    .sgpr_count:     12
    .sgpr_spill_count: 0
    .symbol:         _Z24warp_load_guarded_kernelILj1024ELj4ELj16ELN6hipcub17WarpLoadAlgorithmE1EiEvPT3_S3_iS2_.kd
    .uniform_work_group_size: 1
    .uses_dynamic_stack: false
    .vgpr_count:     9
    .vgpr_spill_count: 0
    .wavefront_size: 32
    .workgroup_processor_mode: 1
  - .args:
      - .address_space:  global
        .offset:         0
        .size:           8
        .value_kind:     global_buffer
      - .address_space:  global
        .offset:         8
        .size:           8
        .value_kind:     global_buffer
      - .offset:         16
        .size:           4
        .value_kind:     by_value
      - .offset:         20
        .size:           4
        .value_kind:     by_value
    .group_segment_fixed_size: 0
    .kernarg_segment_align: 8
    .kernarg_segment_size: 24
    .language:       OpenCL C
    .language_version:
      - 2
      - 0
    .max_flat_workgroup_size: 1024
    .name:           _Z24warp_load_guarded_kernelILj1024ELj4ELj16ELN6hipcub17WarpLoadAlgorithmE0EiEvPT3_S3_iS2_
    .private_segment_fixed_size: 0
    .sgpr_count:     12
    .sgpr_spill_count: 0
    .symbol:         _Z24warp_load_guarded_kernelILj1024ELj4ELj16ELN6hipcub17WarpLoadAlgorithmE0EiEvPT3_S3_iS2_.kd
    .uniform_work_group_size: 1
    .uses_dynamic_stack: false
    .vgpr_count:     9
    .vgpr_spill_count: 0
    .wavefront_size: 32
    .workgroup_processor_mode: 1
  - .args:
      - .address_space:  global
        .offset:         0
        .size:           8
        .value_kind:     global_buffer
      - .address_space:  global
        .offset:         8
        .size:           8
        .value_kind:     global_buffer
      - .offset:         16
        .size:           4
        .value_kind:     by_value
      - .offset:         20
        .size:           4
        .value_kind:     by_value
    .group_segment_fixed_size: 16384
    .kernarg_segment_align: 8
    .kernarg_segment_size: 24
    .language:       OpenCL C
    .language_version:
      - 2
      - 0
    .max_flat_workgroup_size: 1024
    .name:           _Z24warp_load_guarded_kernelILj1024ELj4ELj1ELN6hipcub17WarpLoadAlgorithmE3EiEvPT3_S3_iS2_
    .private_segment_fixed_size: 0
    .sgpr_count:     10
    .sgpr_spill_count: 0
    .symbol:         _Z24warp_load_guarded_kernelILj1024ELj4ELj1ELN6hipcub17WarpLoadAlgorithmE3EiEvPT3_S3_iS2_.kd
    .uniform_work_group_size: 1
    .uses_dynamic_stack: false
    .vgpr_count:     9
    .vgpr_spill_count: 0
    .wavefront_size: 32
    .workgroup_processor_mode: 1
  - .args:
      - .address_space:  global
        .offset:         0
        .size:           8
        .value_kind:     global_buffer
      - .address_space:  global
        .offset:         8
        .size:           8
        .value_kind:     global_buffer
      - .offset:         16
        .size:           4
        .value_kind:     by_value
      - .offset:         20
        .size:           4
        .value_kind:     by_value
    .group_segment_fixed_size: 0
    .kernarg_segment_align: 8
    .kernarg_segment_size: 24
    .language:       OpenCL C
    .language_version:
      - 2
      - 0
    .max_flat_workgroup_size: 1024
    .name:           _Z24warp_load_guarded_kernelILj1024ELj4ELj1ELN6hipcub17WarpLoadAlgorithmE2EiEvPT3_S3_iS2_
    .private_segment_fixed_size: 0
    .sgpr_count:     10
    .sgpr_spill_count: 0
    .symbol:         _Z24warp_load_guarded_kernelILj1024ELj4ELj1ELN6hipcub17WarpLoadAlgorithmE2EiEvPT3_S3_iS2_.kd
    .uniform_work_group_size: 1
    .uses_dynamic_stack: false
    .vgpr_count:     8
    .vgpr_spill_count: 0
    .wavefront_size: 32
    .workgroup_processor_mode: 1
  - .args:
      - .address_space:  global
        .offset:         0
        .size:           8
        .value_kind:     global_buffer
      - .address_space:  global
        .offset:         8
        .size:           8
        .value_kind:     global_buffer
      - .offset:         16
        .size:           4
        .value_kind:     by_value
      - .offset:         20
        .size:           4
        .value_kind:     by_value
    .group_segment_fixed_size: 0
    .kernarg_segment_align: 8
    .kernarg_segment_size: 24
    .language:       OpenCL C
    .language_version:
      - 2
      - 0
    .max_flat_workgroup_size: 1024
    .name:           _Z24warp_load_guarded_kernelILj1024ELj4ELj1ELN6hipcub17WarpLoadAlgorithmE1EiEvPT3_S3_iS2_
    .private_segment_fixed_size: 0
    .sgpr_count:     10
    .sgpr_spill_count: 0
    .symbol:         _Z24warp_load_guarded_kernelILj1024ELj4ELj1ELN6hipcub17WarpLoadAlgorithmE1EiEvPT3_S3_iS2_.kd
    .uniform_work_group_size: 1
    .uses_dynamic_stack: false
    .vgpr_count:     8
    .vgpr_spill_count: 0
    .wavefront_size: 32
    .workgroup_processor_mode: 1
  - .args:
      - .address_space:  global
        .offset:         0
        .size:           8
        .value_kind:     global_buffer
      - .address_space:  global
        .offset:         8
        .size:           8
        .value_kind:     global_buffer
      - .offset:         16
        .size:           4
        .value_kind:     by_value
      - .offset:         20
        .size:           4
        .value_kind:     by_value
    .group_segment_fixed_size: 0
    .kernarg_segment_align: 8
    .kernarg_segment_size: 24
    .language:       OpenCL C
    .language_version:
      - 2
      - 0
    .max_flat_workgroup_size: 1024
    .name:           _Z24warp_load_guarded_kernelILj1024ELj4ELj1ELN6hipcub17WarpLoadAlgorithmE0EiEvPT3_S3_iS2_
    .private_segment_fixed_size: 0
    .sgpr_count:     10
    .sgpr_spill_count: 0
    .symbol:         _Z24warp_load_guarded_kernelILj1024ELj4ELj1ELN6hipcub17WarpLoadAlgorithmE0EiEvPT3_S3_iS2_.kd
    .uniform_work_group_size: 1
    .uses_dynamic_stack: false
    .vgpr_count:     8
    .vgpr_spill_count: 0
    .wavefront_size: 32
    .workgroup_processor_mode: 1
amdhsa.target:   amdgcn-amd-amdhsa--gfx1100
amdhsa.version:
  - 1
  - 2
...

	.end_amdgpu_metadata
